;; amdgpu-corpus repo=ROCm/rocFFT kind=compiled arch=gfx1100 opt=O3
	.text
	.amdgcn_target "amdgcn-amd-amdhsa--gfx1100"
	.amdhsa_code_object_version 6
	.protected	bluestein_single_fwd_len1512_dim1_sp_op_CI_CI ; -- Begin function bluestein_single_fwd_len1512_dim1_sp_op_CI_CI
	.globl	bluestein_single_fwd_len1512_dim1_sp_op_CI_CI
	.p2align	8
	.type	bluestein_single_fwd_len1512_dim1_sp_op_CI_CI,@function
bluestein_single_fwd_len1512_dim1_sp_op_CI_CI: ; @bluestein_single_fwd_len1512_dim1_sp_op_CI_CI
; %bb.0:
	s_load_b128 s[16:19], s[0:1], 0x28
	v_mul_u32_u24_e32 v1, 0x411, v0
	s_mov_b32 s2, exec_lo
	v_mov_b32_e32 v8, 0
	s_delay_alu instid0(VALU_DEP_2) | instskip(NEXT) | instid1(VALU_DEP_1)
	v_lshrrev_b32_e32 v1, 16, v1
	v_add_nc_u32_e32 v7, s15, v1
	s_waitcnt lgkmcnt(0)
	s_delay_alu instid0(VALU_DEP_1)
	v_cmpx_gt_u64_e64 s[16:17], v[7:8]
	s_cbranch_execz .LBB0_10
; %bb.1:
	s_clause 0x1
	s_load_b128 s[4:7], s[0:1], 0x18
	s_load_b128 s[8:11], s[0:1], 0x0
	v_mul_lo_u16 v1, v1, 63
                                        ; implicit-def: $vgpr247
	s_delay_alu instid0(VALU_DEP_1) | instskip(NEXT) | instid1(VALU_DEP_1)
	v_sub_nc_u16 v60, v0, v1
	v_and_b32_e32 v172, 0xffff, v60
	s_waitcnt lgkmcnt(0)
	s_load_b128 s[12:15], s[4:5], 0x0
	s_waitcnt lgkmcnt(0)
	s_delay_alu instid0(VALU_DEP_1)
	v_mad_u64_u32 v[4:5], null, s12, v172, 0
	v_mad_u64_u32 v[2:3], null, s14, v7, 0
	s_mul_i32 s3, s13, 0x17a0
	s_mul_hi_u32 s5, s12, 0x17a0
	s_mul_hi_u32 s14, s12, 0xffffea58
	s_add_i32 s3, s5, s3
	s_delay_alu instid0(VALU_DEP_2) | instskip(NEXT) | instid1(VALU_DEP_2)
	v_mov_b32_e32 v1, v5
	v_dual_mov_b32 v0, v3 :: v_dual_lshlrev_b32 v249, 3, v172
	v_mov_b32_e32 v3, v7
	s_mul_i32 s4, s12, 0xffffea58
	s_sub_i32 s5, s14, s12
	s_delay_alu instid0(VALU_DEP_2) | instskip(NEXT) | instid1(VALU_DEP_1)
	v_add_co_u32 v16, s2, s8, v249
	v_add_co_ci_u32_e64 v17, null, s9, 0, s2
	v_mad_u64_u32 v[5:6], null, s15, v7, v[0:1]
	s_delay_alu instid0(VALU_DEP_3) | instskip(SKIP_1) | instid1(VALU_DEP_4)
	v_add_co_u32 v0, vcc_lo, 0x1000, v16
	v_mad_u64_u32 v[6:7], null, s13, v172, v[1:2]
	v_add_co_ci_u32_e32 v1, vcc_lo, 0, v17, vcc_lo
	scratch_store_b64 off, v[3:4], off      ; 8-byte Folded Spill
	s_clause 0x1
	global_load_b64 v[24:25], v249, s[8:9]
	global_load_b64 v[22:23], v[0:1], off offset:1952
	v_mov_b32_e32 v3, v5
	v_mov_b32_e32 v5, v6
	s_mul_i32 s2, s12, 0x17a0
	s_mulk_i32 s13, 0xea58
	v_add_nc_u32_e32 v62, 0x2000, v249
	v_lshlrev_b64 v[2:3], 3, v[2:3]
	v_lshlrev_b64 v[4:5], 3, v[4:5]
	s_add_i32 s5, s5, s13
	v_add_nc_u32_e32 v168, 0x800, v249
	v_add_co_u32 v176, null, 0xbd, v172
	s_delay_alu instid0(VALU_DEP_4) | instskip(SKIP_2) | instid1(VALU_DEP_3)
	v_add_co_u32 v2, vcc_lo, s18, v2
	v_add_co_ci_u32_e32 v3, vcc_lo, s19, v3, vcc_lo
	v_add_nc_u32_e32 v68, 0x1000, v249
	v_add_co_u32 v2, vcc_lo, v2, v4
	s_delay_alu instid0(VALU_DEP_3)
	v_add_co_ci_u32_e32 v3, vcc_lo, v3, v5, vcc_lo
	v_add_nc_u32_e32 v70, 0x1c00, v249
	v_and_b32_e32 v56, 1, v172
	v_add_nc_u32_e32 v72, 0x2400, v249
	global_load_b64 v[6:7], v[2:3], off
	v_add_co_u32 v2, vcc_lo, v2, s2
	v_add_co_ci_u32_e32 v3, vcc_lo, s3, v3, vcc_lo
	v_and_b32_e32 v78, 3, v172
	s_delay_alu instid0(VALU_DEP_3) | instskip(NEXT) | instid1(VALU_DEP_3)
	v_add_co_u32 v4, vcc_lo, v2, s4
	v_add_co_ci_u32_e32 v5, vcc_lo, s5, v3, vcc_lo
	global_load_b64 v[8:9], v[2:3], off
	global_load_b64 v[30:31], v249, s[8:9] offset:504
	global_load_b64 v[10:11], v[4:5], off
	v_add_co_u32 v2, vcc_lo, v4, s2
	v_add_co_ci_u32_e32 v3, vcc_lo, s3, v5, vcc_lo
	global_load_b64 v[28:29], v[0:1], off offset:2456
	v_add_co_u32 v14, vcc_lo, v2, s4
	v_add_co_ci_u32_e32 v15, vcc_lo, s5, v3, vcc_lo
	global_load_b64 v[4:5], v[2:3], off
	v_add_co_u32 v12, vcc_lo, v14, s2
	v_add_co_ci_u32_e32 v13, vcc_lo, s3, v15, vcc_lo
	global_load_b64 v[26:27], v[0:1], off offset:2960
	global_load_b64 v[2:3], v[12:13], off
	s_clause 0x2
	global_load_b64 v[34:35], v249, s[8:9] offset:1008
	global_load_b64 v[36:37], v249, s[8:9] offset:1512
	global_load_b64 v[32:33], v[0:1], off offset:1448
	global_load_b64 v[14:15], v[14:15], off
	v_add_co_u32 v12, vcc_lo, v12, s4
	v_add_co_ci_u32_e32 v13, vcc_lo, s5, v13, vcc_lo
	v_lshlrev_b32_e32 v66, 1, v176
	v_and_b32_e32 v80, 3, v176
	v_add_nc_u32_e32 v61, 0x1800, v249
	v_add_nc_u32_e32 v71, 0x400, v249
	;; [unrolled: 1-line block ×5, first 2 shown]
	v_lshlrev_b32_e32 v151, 4, v172
	v_add_nc_u32_e32 v83, 0x2b5, v172
	v_and_b32_e32 v57, 1, v176
	v_add_nc_u32_e32 v77, 0x237, v172
	s_delay_alu instid0(VALU_DEP_3) | instskip(NEXT) | instid1(VALU_DEP_2)
	v_and_b32_e32 v55, 1, v83
	v_and_b32_e32 v64, 1, v77
	s_waitcnt vmcnt(13)
	scratch_store_b64 off, v[24:25], off offset:20 ; 8-byte Folded Spill
	s_waitcnt vmcnt(12)
	scratch_store_b64 off, v[22:23], off offset:12 ; 8-byte Folded Spill
	s_waitcnt vmcnt(11)
	v_mul_f32_e32 v18, v7, v25
	v_mul_f32_e32 v19, v6, v25
	s_delay_alu instid0(VALU_DEP_2) | instskip(NEXT) | instid1(VALU_DEP_2)
	v_fmac_f32_e32 v18, v6, v24
	v_fma_f32 v19, v7, v24, -v19
	s_waitcnt vmcnt(10)
	v_mul_f32_e32 v20, v8, v23
	v_mul_f32_e32 v6, v9, v23
	s_waitcnt vmcnt(8)
	v_mul_f32_e32 v21, v10, v31
	scratch_store_b64 off, v[30:31], off offset:44 ; 8-byte Folded Spill
	v_fma_f32 v7, v9, v22, -v20
	v_fmac_f32_e32 v6, v8, v22
	v_mul_f32_e32 v20, v11, v31
	s_clause 0x1
	global_load_b64 v[24:25], v[0:1], off offset:3464
	global_load_b64 v[22:23], v[0:1], off offset:3968
	v_fma_f32 v21, v11, v30, -v21
	s_waitcnt vmcnt(9)
	scratch_store_b64 off, v[28:29], off offset:36 ; 8-byte Folded Spill
	ds_store_b64 v249, v[6:7] offset:6048
	global_load_b64 v[6:7], v[12:13], off
	v_fmac_f32_e32 v20, v10, v30
	s_waitcnt vmcnt(9)
	v_mul_f32_e32 v8, v5, v29
	v_mul_f32_e32 v9, v4, v29
	v_add_co_u32 v10, vcc_lo, v12, s2
	v_add_co_ci_u32_e32 v11, vcc_lo, s3, v13, vcc_lo
	s_delay_alu instid0(VALU_DEP_3)
	v_fma_f32 v9, v5, v28, -v9
	s_waitcnt vmcnt(7)
	v_dual_mul_f32 v5, v2, v27 :: v_dual_fmac_f32 v8, v4, v28
	v_mul_f32_e32 v4, v3, v27
	v_add_co_u32 v12, vcc_lo, v10, s4
	v_add_co_ci_u32_e32 v13, vcc_lo, s5, v11, vcc_lo
	global_load_b64 v[10:11], v[10:11], off
	v_fmac_f32_e32 v4, v2, v26
	v_add_co_u32 v2, vcc_lo, v12, s2
	v_fma_f32 v5, v3, v26, -v5
	v_add_co_ci_u32_e32 v3, vcc_lo, s3, v13, vcc_lo
	ds_store_2addr_b64 v249, v[18:19], v[20:21] offset1:63
	scratch_store_b64 off, v[26:27], off offset:28 ; 8-byte Folded Spill
	ds_store_2addr_b64 v61, v[8:9], v[4:5] offset0:51 offset1:114
	global_load_b64 v[4:5], v[2:3], off
	s_waitcnt vmcnt(5)
	v_mul_f32_e32 v8, v14, v35
	v_add_co_u32 v2, vcc_lo, v2, s4
	v_add_co_ci_u32_e32 v3, vcc_lo, s5, v3, vcc_lo
	s_delay_alu instid0(VALU_DEP_3)
	v_fma_f32 v9, v15, v34, -v8
	v_mul_f32_e32 v8, v15, v35
	s_clause 0x1
	scratch_store_b64 off, v[34:35], off offset:132
	scratch_store_b64 off, v[36:37], off offset:140
	global_load_b64 v[12:13], v[12:13], off
	global_load_b64 v[20:21], v249, s[8:9] offset:2016
	v_fmac_f32_e32 v8, v14, v34
	s_waitcnt vmcnt(6)
	scratch_store_b64 off, v[24:25], off offset:188 ; 8-byte Folded Spill
	s_waitcnt vmcnt(5)
	scratch_store_b64 off, v[22:23], off offset:156 ; 8-byte Folded Spill
	s_waitcnt vmcnt(4)
	v_mul_f32_e32 v14, v6, v37
	s_delay_alu instid0(VALU_DEP_1) | instskip(SKIP_1) | instid1(VALU_DEP_1)
	v_fma_f32 v15, v7, v36, -v14
	v_mul_f32_e32 v14, v7, v37
	v_fmac_f32_e32 v14, v6, v36
	s_waitcnt vmcnt(3)
	v_mul_f32_e32 v6, v10, v25
	s_delay_alu instid0(VALU_DEP_1) | instskip(SKIP_1) | instid1(VALU_DEP_1)
	v_fma_f32 v7, v11, v24, -v6
	v_mul_f32_e32 v6, v11, v25
	v_fmac_f32_e32 v6, v10, v24
	;; [unrolled: 6-line block ×3, first 2 shown]
	ds_store_2addr_b64 v249, v[8:9], v[14:15] offset0:126 offset1:189
	ds_store_2addr_b64 v61, v[6:7], v[10:11] offset0:177 offset1:240
	s_clause 0x2
	global_load_b64 v[9:10], v249, s[8:9] offset:2520
	global_load_b64 v[22:23], v249, s[8:9] offset:3024
	;; [unrolled: 1-line block ×3, first 2 shown]
	global_load_b64 v[6:7], v[2:3], off
	s_waitcnt vmcnt(4)
	v_mul_f32_e32 v4, v12, v21
	v_add_co_u32 v2, vcc_lo, v2, s2
	v_add_co_ci_u32_e32 v3, vcc_lo, s3, v3, vcc_lo
	s_delay_alu instid0(VALU_DEP_3)
	v_fma_f32 v5, v13, v20, -v4
	v_mul_f32_e32 v4, v13, v21
	scratch_store_b64 off, v[20:21], off offset:196 ; 8-byte Folded Spill
	v_fmac_f32_e32 v4, v12, v20
	s_waitcnt vmcnt(3)
	scratch_store_b64 off, v[9:10], off offset:172 ; 8-byte Folded Spill
	s_waitcnt vmcnt(0)
	v_mul_f32_e32 v8, v6, v10
	s_delay_alu instid0(VALU_DEP_1) | instskip(SKIP_1) | instid1(VALU_DEP_1)
	v_fma_f32 v8, v7, v9, -v8
	v_mul_f32_e32 v7, v7, v10
	v_fmac_f32_e32 v7, v6, v9
	ds_store_2addr_b64 v71, v[4:5], v[7:8] offset0:124 offset1:187
	v_add_co_u32 v4, vcc_lo, 0x2000, v16
	v_add_co_ci_u32_e32 v5, vcc_lo, 0, v17, vcc_lo
	v_add_co_u32 v6, vcc_lo, v2, s4
	v_add_co_ci_u32_e32 v7, vcc_lo, s5, v3, vcc_lo
	global_load_b64 v[2:3], v[2:3], off
	s_clause 0x3
	global_load_b64 v[10:11], v[4:5], off offset:376
	global_load_b64 v[20:21], v[4:5], off offset:880
	;; [unrolled: 1-line block ×4, first 2 shown]
	s_clause 0x1
	scratch_store_b64 off, v[22:23], off offset:164
	scratch_store_b64 off, v[18:19], off offset:116
	s_waitcnt vmcnt(3)
	v_mul_f32_e32 v8, v2, v11
	scratch_store_b64 off, v[10:11], off offset:180 ; 8-byte Folded Spill
	s_waitcnt vmcnt(2)
	scratch_store_b64 off, v[20:21], off offset:148 ; 8-byte Folded Spill
	s_waitcnt vmcnt(1)
	;; [unrolled: 2-line block ×3, first 2 shown]
	scratch_store_b64 off, v[13:14], off offset:60 ; 8-byte Folded Spill
	v_fma_f32 v9, v3, v10, -v8
	v_mul_f32_e32 v8, v3, v11
	s_delay_alu instid0(VALU_DEP_1)
	v_fmac_f32_e32 v8, v2, v10
	v_add_co_u32 v2, vcc_lo, v6, s2
	v_add_co_ci_u32_e32 v3, vcc_lo, s3, v7, vcc_lo
	global_load_b64 v[6:7], v[6:7], off
	global_load_b64 v[10:11], v[2:3], off
	v_add_co_u32 v2, vcc_lo, v2, s4
	v_add_co_ci_u32_e32 v3, vcc_lo, s5, v3, vcc_lo
	s_waitcnt vmcnt(0)
	v_mul_f32_e32 v12, v10, v21
	s_delay_alu instid0(VALU_DEP_1) | instskip(SKIP_1) | instid1(VALU_DEP_1)
	v_fma_f32 v12, v11, v20, -v12
	v_mul_f32_e32 v11, v11, v21
	v_fmac_f32_e32 v11, v10, v20
	ds_store_2addr_b64 v62, v[8:9], v[11:12] offset0:47 offset1:110
	global_load_b64 v[9:10], v[2:3], off
	v_mul_f32_e32 v8, v6, v23
	v_add_co_u32 v2, vcc_lo, v2, s2
	v_add_co_ci_u32_e32 v3, vcc_lo, s3, v3, vcc_lo
	s_delay_alu instid0(VALU_DEP_3) | instskip(SKIP_2) | instid1(VALU_DEP_1)
	v_fma_f32 v8, v7, v22, -v8
	v_mul_f32_e32 v7, v7, v23
	s_waitcnt vmcnt(0)
	v_dual_fmac_f32 v7, v6, v22 :: v_dual_mul_f32 v6, v9, v19
	s_delay_alu instid0(VALU_DEP_1) | instskip(SKIP_2) | instid1(VALU_DEP_2)
	v_fma_f32 v11, v10, v18, -v6
	v_mul_f32_e32 v10, v10, v19
	v_add_co_u32 v6, vcc_lo, v2, s4
	v_fmac_f32_e32 v10, v9, v18
	ds_store_2addr_b64 v168, v[7:8], v[10:11] offset0:122 offset1:185
	v_add_co_ci_u32_e32 v7, vcc_lo, s5, v3, vcc_lo
	global_load_b64 v[2:3], v[2:3], off
	s_waitcnt vmcnt(0)
	v_mul_f32_e32 v8, v2, v16
	s_delay_alu instid0(VALU_DEP_1) | instskip(SKIP_1) | instid1(VALU_DEP_1)
	v_fma_f32 v9, v3, v15, -v8
	v_mul_f32_e32 v8, v3, v16
	v_fmac_f32_e32 v8, v2, v15
	v_add_co_u32 v2, vcc_lo, v6, s2
	v_add_co_ci_u32_e32 v3, vcc_lo, s3, v7, vcc_lo
	global_load_b64 v[10:11], v[2:3], off
	v_add_co_u32 v2, vcc_lo, v2, s4
	v_add_co_ci_u32_e32 v3, vcc_lo, s5, v3, vcc_lo
	s_waitcnt vmcnt(0)
	v_mul_f32_e32 v12, v10, v14
	s_delay_alu instid0(VALU_DEP_1) | instskip(SKIP_1) | instid1(VALU_DEP_1)
	v_fma_f32 v12, v11, v13, -v12
	v_mul_f32_e32 v11, v11, v14
	v_fmac_f32_e32 v11, v10, v13
	ds_store_2addr_b64 v62, v[8:9], v[11:12] offset0:173 offset1:236
	global_load_b64 v[6:7], v[6:7], off
	global_load_b64 v[9:10], v249, s[8:9] offset:4032
	s_waitcnt vmcnt(0)
	scratch_store_b64 off, v[9:10], off offset:92 ; 8-byte Folded Spill
	s_clause 0x1
	global_load_b64 v[11:12], v[0:1], off offset:440
	global_load_b64 v[13:14], v[0:1], off offset:944
	global_load_b64 v[0:1], v[2:3], off
	v_mul_f32_e32 v8, v6, v10
	s_delay_alu instid0(VALU_DEP_1) | instskip(SKIP_1) | instid1(VALU_DEP_1)
	v_fma_f32 v8, v7, v9, -v8
	v_mul_f32_e32 v7, v7, v10
	v_fmac_f32_e32 v7, v6, v9
	s_waitcnt vmcnt(2)
	scratch_store_b64 off, v[11:12], off offset:100 ; 8-byte Folded Spill
	s_waitcnt vmcnt(0)
	v_mul_f32_e32 v9, v1, v12
	v_mul_f32_e32 v6, v0, v12
	s_delay_alu instid0(VALU_DEP_2) | instskip(SKIP_1) | instid1(VALU_DEP_3)
	v_fmac_f32_e32 v9, v0, v11
	v_add_co_u32 v0, vcc_lo, v2, s2
	v_fma_f32 v10, v1, v11, -v6
	v_add_co_ci_u32_e32 v1, vcc_lo, s3, v3, vcc_lo
	s_delay_alu instid0(VALU_DEP_3)
	v_add_co_u32 v2, vcc_lo, v0, s4
	ds_store_2addr_b64 v73, v[7:8], v[9:10] offset0:120 offset1:183
	v_add_co_ci_u32_e32 v3, vcc_lo, s5, v1, vcc_lo
	global_load_b64 v[0:1], v[0:1], off
	s_clause 0x2
	global_load_b64 v[6:7], v[4:5], off offset:2392
	global_load_b64 v[9:10], v[4:5], off offset:2896
	;; [unrolled: 1-line block ×3, first 2 shown]
	scratch_store_b64 off, v[32:33], off offset:52 ; 8-byte Folded Spill
	s_waitcnt vmcnt(2)
	v_mul_f32_e32 v4, v0, v7
	scratch_store_b64 off, v[6:7], off offset:108 ; 8-byte Folded Spill
	s_waitcnt vmcnt(1)
	scratch_store_b64 off, v[9:10], off offset:68 ; 8-byte Folded Spill
	s_waitcnt vmcnt(0)
	s_clause 0x1
	scratch_store_b64 off, v[11:12], off offset:76
	scratch_store_b64 off, v[13:14], off offset:84
	v_fma_f32 v5, v1, v6, -v4
	v_mul_f32_e32 v4, v1, v7
	s_delay_alu instid0(VALU_DEP_1)
	v_fmac_f32_e32 v4, v0, v6
	v_add_co_u32 v0, vcc_lo, v2, s2
	v_add_co_ci_u32_e32 v1, vcc_lo, s3, v3, vcc_lo
	global_load_b64 v[2:3], v[2:3], off
	global_load_b64 v[6:7], v[0:1], off
	v_add_co_u32 v0, vcc_lo, v0, s4
	v_add_co_ci_u32_e32 v1, vcc_lo, s5, v1, vcc_lo
	s_load_b128 s[4:7], s[6:7], 0x0
	s_waitcnt vmcnt(0)
	v_mul_f32_e32 v8, v6, v10
	s_delay_alu instid0(VALU_DEP_1) | instskip(SKIP_1) | instid1(VALU_DEP_1)
	v_fma_f32 v8, v7, v9, -v8
	v_mul_f32_e32 v7, v7, v10
	v_fmac_f32_e32 v7, v6, v9
	ds_store_2addr_b64 v63, v[4:5], v[7:8] offset0:43 offset1:106
	global_load_b64 v[5:6], v[0:1], off
	v_add_co_u32 v0, vcc_lo, v0, s2
	v_add_co_ci_u32_e32 v1, vcc_lo, s3, v1, vcc_lo
	v_mul_f32_e32 v4, v2, v14
	v_add_co_u32 v74, s2, v172, 63
	global_load_b64 v[0:1], v[0:1], off
	v_add_co_ci_u32_e64 v75, null, 0, 0, s2
	v_fma_f32 v4, v3, v13, -v4
	v_mul_f32_e32 v3, v3, v14
	v_cmp_gt_u16_e32 vcc_lo, 9, v60
	s_delay_alu instid0(VALU_DEP_2) | instskip(SKIP_2) | instid1(VALU_DEP_1)
	v_fmac_f32_e32 v3, v2, v13
	s_waitcnt vmcnt(1)
	v_mul_f32_e32 v2, v5, v33
	v_fma_f32 v7, v6, v32, -v2
	v_mul_f32_e32 v6, v6, v33
	s_waitcnt vmcnt(0)
	v_mul_f32_e32 v2, v0, v12
	s_delay_alu instid0(VALU_DEP_2) | instskip(NEXT) | instid1(VALU_DEP_2)
	v_fmac_f32_e32 v6, v5, v32
	v_fma_f32 v2, v1, v11, -v2
	v_mul_f32_e32 v1, v1, v12
	ds_store_2addr_b64 v68, v[3:4], v[6:7] offset0:118 offset1:181
	v_fmac_f32_e32 v1, v0, v11
	ds_store_b64 v249, v[1:2] offset:11592
	s_waitcnt lgkmcnt(0)
	s_waitcnt_vscnt null, 0x0
	s_barrier
	buffer_gl0_inv
	ds_load_2addr_b64 v[28:31], v249 offset1:63
	ds_load_2addr_b64 v[0:3], v69 offset0:116 offset1:179
	s_waitcnt lgkmcnt(0)
	v_dual_sub_f32 v46, v28, v0 :: v_dual_sub_f32 v47, v29, v1
	v_dual_sub_f32 v6, v30, v2 :: v_dual_sub_f32 v7, v31, v3
	ds_load_2addr_b64 v[32:35], v249 offset0:126 offset1:189
	ds_load_2addr_b64 v[0:3], v61 offset0:114 offset1:177
	;; [unrolled: 1-line block ×4, first 2 shown]
	v_fma_f32 v44, v28, 2.0, -v46
	v_fma_f32 v45, v29, 2.0, -v47
	;; [unrolled: 1-line block ×4, first 2 shown]
	s_waitcnt lgkmcnt(0)
	v_dual_sub_f32 v3, v35, v3 :: v_dual_sub_f32 v26, v36, v8
	v_dual_sub_f32 v27, v37, v9 :: v_dual_sub_f32 v14, v38, v10
	v_sub_f32_e32 v15, v39, v11
	ds_load_2addr_b64 v[40:43], v168 offset0:122 offset1:185
	ds_load_2addr_b64 v[8:11], v62 offset0:110 offset1:173
	v_dual_sub_f32 v18, v32, v0 :: v_dual_sub_f32 v19, v33, v1
	v_sub_f32_e32 v2, v34, v2
	v_fma_f32 v1, v35, 2.0, -v3
	v_fma_f32 v24, v36, 2.0, -v26
	s_delay_alu instid0(VALU_DEP_4)
	v_fma_f32 v16, v32, 2.0, -v18
	v_fma_f32 v17, v33, 2.0, -v19
	;; [unrolled: 1-line block ×6, first 2 shown]
	s_waitcnt lgkmcnt(0)
	v_dual_sub_f32 v22, v40, v8 :: v_dual_sub_f32 v23, v41, v9
	v_dual_sub_f32 v10, v42, v10 :: v_dual_sub_f32 v11, v43, v11
	s_delay_alu instid0(VALU_DEP_2) | instskip(NEXT) | instid1(VALU_DEP_3)
	v_fma_f32 v20, v40, 2.0, -v22
	v_fma_f32 v21, v41, 2.0, -v23
	s_delay_alu instid0(VALU_DEP_3) | instskip(NEXT) | instid1(VALU_DEP_4)
	v_fma_f32 v8, v42, 2.0, -v10
	v_fma_f32 v9, v43, 2.0, -v11
	ds_load_2addr_b64 v[32:35], v73 offset0:120 offset1:183
	ds_load_2addr_b64 v[40:43], v72 offset0:108 offset1:171
	;; [unrolled: 1-line block ×4, first 2 shown]
	s_waitcnt lgkmcnt(0)
	s_barrier
	buffer_gl0_inv
	ds_store_b128 v151, v[44:47]
	v_lshlrev_b32_e32 v44, 4, v74
	ds_store_b128 v44, v[4:7]
	v_add_co_u32 v4, null, 0x7e, v172
	s_delay_alu instid0(VALU_DEP_1)
	v_lshlrev_b32_e32 v5, 4, v4
	v_and_b32_e32 v79, 3, v4
	v_sub_f32_e32 v7, v28, v36
	scratch_store_b32 off, v5, off offset:428 ; 4-byte Folded Spill
	ds_store_b128 v5, v[16:19]
	v_lshlrev_b32_e32 v5, 4, v176
	v_add_co_u32 v16, null, 0xfc, v172
	ds_store_b128 v5, v[0:3]
	v_dual_sub_f32 v3, v33, v41 :: v_dual_lshlrev_b32 v0, 4, v16
	v_and_b32_e32 v89, 0xffff, v16
	ds_store_b128 v0, v[24:27]
	v_add_co_u32 v26, null, 0x13b, v172
	scratch_store_b32 off, v0, off offset:420 ; 4-byte Folded Spill
	v_add_co_u32 v25, null, 0x17a, v172
	v_lshlrev_b32_e32 v0, 4, v26
	v_add_co_u32 v24, null, 0x1b9, v172
	v_fma_f32 v1, v33, 2.0, -v3
	v_and_b32_e32 v58, 1, v26
	scratch_store_b32 off, v0, off offset:416 ; 4-byte Folded Spill
	v_and_b32_e32 v59, 1, v24
	ds_store_b128 v0, v[12:15]
	v_lshlrev_b32_e32 v0, 4, v25
	v_lshlrev_b32_e32 v15, 1, v172
	scratch_store_b32 off, v44, off offset:432 ; 4-byte Folded Spill
	v_dual_sub_f32 v12, v31, v39 :: v_dual_lshlrev_b32 v67, 1, v26
	scratch_store_b32 off, v0, off offset:412 ; 4-byte Folded Spill
	ds_store_b128 v0, v[20:23]
	v_lshlrev_b32_e32 v0, 4, v24
	v_and_or_b32 v65, 0x7c, v15, v56
	v_sub_f32_e32 v2, v32, v40
	scratch_store_b32 off, v5, off offset:424 ; 4-byte Folded Spill
	v_lshlrev_b32_e32 v5, 3, v15
	scratch_store_b32 off, v0, off offset:408 ; 4-byte Folded Spill
	ds_store_b128 v0, v[8:11]
	v_lshlrev_b32_e32 v65, 3, v65
	v_fma_f32 v0, v32, 2.0, -v2
	v_dual_sub_f32 v8, v29, v37 :: v_dual_sub_f32 v11, v30, v38
	v_and_b32_e32 v23, 1, v74
	v_fma_f32 v10, v31, 2.0, -v12
	ds_store_b128 v5, v[0:3] offset:8064
	v_dual_sub_f32 v2, v34, v42 :: v_dual_sub_f32 v3, v35, v43
	v_fma_f32 v5, v28, 2.0, -v7
	v_fma_f32 v6, v29, 2.0, -v8
	;; [unrolled: 1-line block ×3, first 2 shown]
	s_delay_alu instid0(VALU_DEP_4)
	v_fma_f32 v0, v34, 2.0, -v2
	v_fma_f32 v1, v35, 2.0, -v3
	ds_store_b128 v151, v[0:3] offset:9072
	ds_store_b128 v151, v[5:8] offset:10080
	;; [unrolled: 1-line block ×3, first 2 shown]
	v_lshlrev_b32_e32 v0, 3, v23
	s_waitcnt lgkmcnt(0)
	s_waitcnt_vscnt null, 0x0
	s_barrier
	buffer_gl0_inv
	v_lshlrev_b32_e32 v1, 3, v56
	global_load_b32 v174, v0, s[10:11]
	v_lshlrev_b32_e32 v0, 3, v55
	s_clause 0x2
	global_load_b32 v175, v0, s[10:11] offset:4
	global_load_b64 v[235:236], v0, s[10:11]
	global_load_b64 v[237:238], v1, s[10:11]
	ds_load_2addr_b64 v[0:3], v69 offset0:116 offset1:179
	v_add_nc_u32_e32 v86, 0x3f0, v15
	v_and_or_b32 v15, 0x78, v15, v78
	v_and_b32_e32 v85, 3, v24
	v_lshlrev_b32_e32 v76, 1, v24
	v_and_b32_e32 v82, 3, v25
	v_and_b32_e32 v84, 3, v26
	v_lshlrev_b32_e32 v15, 3, v15
	v_and_b32_e32 v91, 0xffff, v26
	v_and_b32_e32 v135, 0xffff, v25
	;; [unrolled: 1-line block ×3, first 2 shown]
	s_waitcnt vmcnt(0) lgkmcnt(0)
	v_dual_mul_f32 v8, v2, v236 :: v_dual_mul_f32 v5, v1, v238
	v_mul_f32_e32 v6, v0, v238
	s_delay_alu instid0(VALU_DEP_2) | instskip(NEXT) | instid1(VALU_DEP_3)
	v_fmac_f32_e32 v8, v3, v174
	v_fma_f32 v5, v0, v237, -v5
	v_mul_f32_e32 v0, v3, v236
	s_delay_alu instid0(VALU_DEP_4) | instskip(NEXT) | instid1(VALU_DEP_2)
	v_fmac_f32_e32 v6, v1, v237
	v_fma_f32 v7, v2, v174, -v0
	ds_load_2addr_b64 v[0:3], v61 offset0:114 offset1:177
	s_waitcnt lgkmcnt(0)
	v_mul_f32_e32 v9, v1, v238
	v_mul_f32_e32 v14, v0, v238
	s_delay_alu instid0(VALU_DEP_2) | instskip(SKIP_1) | instid1(VALU_DEP_3)
	v_fma_f32 v13, v0, v237, -v9
	v_lshlrev_b32_e32 v0, 3, v57
	v_fmac_f32_e32 v14, v1, v237
	global_load_b64 v[245:246], v0, s[10:11]
	v_lshlrev_b32_e32 v0, 3, v58
	global_load_b64 v[243:244], v0, s[10:11]
	v_lshlrev_b32_e32 v0, 3, v59
	;; [unrolled: 2-line block ×3, first 2 shown]
	global_load_b64 v[239:240], v0, s[10:11]
	s_waitcnt vmcnt(3)
	v_mul_f32_e32 v0, v3, v246
	v_mul_f32_e32 v18, v2, v246
	s_delay_alu instid0(VALU_DEP_2) | instskip(NEXT) | instid1(VALU_DEP_2)
	v_fma_f32 v17, v2, v245, -v0
	v_fmac_f32_e32 v18, v3, v245
	ds_load_2addr_b64 v[0:3], v70 offset0:112 offset1:175
	s_waitcnt lgkmcnt(0)
	v_mul_f32_e32 v9, v1, v238
	v_mul_f32_e32 v28, v0, v238
	s_waitcnt vmcnt(2)
	v_mul_f32_e32 v30, v2, v244
	s_delay_alu instid0(VALU_DEP_3) | instskip(SKIP_2) | instid1(VALU_DEP_4)
	v_fma_f32 v27, v0, v237, -v9
	v_mul_f32_e32 v0, v3, v244
	v_fmac_f32_e32 v28, v1, v237
	v_fmac_f32_e32 v30, v3, v243
	s_delay_alu instid0(VALU_DEP_3)
	v_fma_f32 v29, v2, v243, -v0
	ds_load_2addr_b64 v[0:3], v62 offset0:110 offset1:173
	s_waitcnt lgkmcnt(0)
	v_mul_f32_e32 v9, v1, v238
	v_mul_f32_e32 v36, v0, v238
	s_waitcnt vmcnt(1)
	v_mul_f32_e32 v38, v2, v242
	s_delay_alu instid0(VALU_DEP_3) | instskip(SKIP_2) | instid1(VALU_DEP_4)
	v_fma_f32 v35, v0, v237, -v9
	v_mul_f32_e32 v0, v3, v242
	v_fmac_f32_e32 v36, v1, v237
	v_fmac_f32_e32 v38, v3, v241
	s_delay_alu instid0(VALU_DEP_3)
	v_fma_f32 v37, v2, v241, -v0
	;; [unrolled: 13-line block ×3, first 2 shown]
	ds_load_2addr_b64 v[0:3], v63 offset0:106 offset1:169
	s_waitcnt lgkmcnt(0)
	v_mul_f32_e32 v9, v1, v238
	v_mul_f32_e32 v52, v0, v238
	;; [unrolled: 1-line block ×3, first 2 shown]
	s_delay_alu instid0(VALU_DEP_3) | instskip(SKIP_1) | instid1(VALU_DEP_4)
	v_fma_f32 v51, v0, v237, -v9
	v_mul_f32_e32 v0, v3, v175
	v_fmac_f32_e32 v52, v1, v237
	s_delay_alu instid0(VALU_DEP_4) | instskip(NEXT) | instid1(VALU_DEP_3)
	v_fmac_f32_e32 v54, v3, v235
	v_fma_f32 v53, v2, v235, -v0
	ds_load_2addr_b64 v[0:3], v249 offset1:63
	s_waitcnt lgkmcnt(0)
	v_dual_sub_f32 v5, v0, v5 :: v_dual_sub_f32 v6, v1, v6
	v_dual_sub_f32 v7, v2, v7 :: v_dual_sub_f32 v8, v3, v8
	s_delay_alu instid0(VALU_DEP_2) | instskip(NEXT) | instid1(VALU_DEP_3)
	v_fma_f32 v9, v0, 2.0, -v5
	v_fma_f32 v10, v1, 2.0, -v6
	s_delay_alu instid0(VALU_DEP_3) | instskip(NEXT) | instid1(VALU_DEP_4)
	v_fma_f32 v11, v2, 2.0, -v7
	v_fma_f32 v12, v3, 2.0, -v8
	ds_load_2addr_b64 v[0:3], v249 offset0:126 offset1:189
	s_waitcnt lgkmcnt(0)
	v_dual_sub_f32 v13, v0, v13 :: v_dual_sub_f32 v14, v1, v14
	v_dual_sub_f32 v17, v2, v17 :: v_dual_sub_f32 v18, v3, v18
	s_delay_alu instid0(VALU_DEP_2) | instskip(NEXT) | instid1(VALU_DEP_3)
	v_fma_f32 v19, v0, 2.0, -v13
	v_fma_f32 v20, v1, 2.0, -v14
	s_delay_alu instid0(VALU_DEP_3) | instskip(NEXT) | instid1(VALU_DEP_4)
	v_fma_f32 v21, v2, 2.0, -v17
	v_fma_f32 v22, v3, 2.0, -v18
	ds_load_2addr_b64 v[0:3], v71 offset0:124 offset1:187
	;; [unrolled: 10-line block ×5, first 2 shown]
	s_waitcnt lgkmcnt(0)
	s_barrier
	buffer_gl0_inv
	scratch_store_b32 off, v65, off offset:404 ; 4-byte Folded Spill
	ds_store_2addr_b64 v65, v[9:10], v[5:6] offset1:2
	v_lshlrev_b32_e32 v65, 1, v74
	s_delay_alu instid0(VALU_DEP_1) | instskip(SKIP_1) | instid1(VALU_DEP_2)
	v_and_or_b32 v5, 0xfc, v65, v23
	v_lshlrev_b32_e32 v23, 1, v4
	v_lshlrev_b32_e32 v5, 3, v5
	v_sub_f32_e32 v51, v0, v51
	scratch_store_b32 off, v5, off offset:400 ; 4-byte Folded Spill
	ds_store_2addr_b64 v5, v[11:12], v[7:8] offset1:2
	v_and_or_b32 v5, 0x1fc, v23, v56
	v_add_nc_u32_e32 v12, 0x276, v172
	v_sub_f32_e32 v52, v1, v52
	v_fma_f32 v0, v0, 2.0, -v51
	v_sub_f32_e32 v53, v2, v53
	v_dual_sub_f32 v54, v3, v54 :: v_dual_lshlrev_b32 v5, 3, v5
	s_delay_alu instid0(VALU_DEP_4) | instskip(SKIP_1) | instid1(VALU_DEP_4)
	v_fma_f32 v1, v1, 2.0, -v52
	v_and_b32_e32 v81, 3, v12
	v_fma_f32 v2, v2, 2.0, -v53
	scratch_store_b32 off, v5, off offset:396 ; 4-byte Folded Spill
	ds_store_2addr_b64 v5, v[19:20], v[13:14] offset1:2
	v_and_or_b32 v5, 0x1fc, v66, v57
	v_lshlrev_b32_e32 v57, 1, v16
	v_fma_f32 v3, v3, 2.0, -v54
	s_delay_alu instid0(VALU_DEP_3) | instskip(SKIP_3) | instid1(VALU_DEP_1)
	v_lshlrev_b32_e32 v5, 3, v5
	scratch_store_b32 off, v5, off offset:392 ; 4-byte Folded Spill
	ds_store_2addr_b64 v5, v[21:22], v[17:18] offset1:2
	v_and_or_b32 v5, 0x3fc, v57, v56
	v_lshlrev_b32_e32 v5, 3, v5
	scratch_store_b32 off, v5, off offset:388 ; 4-byte Folded Spill
	ds_store_2addr_b64 v5, v[31:32], v[27:28] offset1:2
	v_and_or_b32 v5, 0x2fc, v67, v58
	v_lshlrev_b32_e32 v58, 1, v25
	s_delay_alu instid0(VALU_DEP_2) | instskip(SKIP_3) | instid1(VALU_DEP_1)
	v_lshlrev_b32_e32 v5, 3, v5
	scratch_store_b32 off, v5, off offset:384 ; 4-byte Folded Spill
	ds_store_2addr_b64 v5, v[33:34], v[29:30] offset1:2
	v_and_or_b32 v5, 0x3fc, v58, v56
	v_lshlrev_b32_e32 v5, 3, v5
	scratch_store_b32 off, v5, off offset:380 ; 4-byte Folded Spill
	ds_store_2addr_b64 v5, v[39:40], v[35:36] offset1:2
	v_and_or_b32 v5, 0x3fc, v76, v59
	v_lshlrev_b32_e32 v59, 1, v77
	s_delay_alu instid0(VALU_DEP_2) | instskip(SKIP_3) | instid1(VALU_DEP_1)
	v_lshlrev_b32_e32 v5, 3, v5
	scratch_store_b32 off, v5, off offset:376 ; 4-byte Folded Spill
	ds_store_2addr_b64 v5, v[41:42], v[37:38] offset1:2
	v_and_or_b32 v5, 0x7fc, v86, v56
	v_lshlrev_b32_e32 v5, 3, v5
	scratch_store_b32 off, v5, off offset:372 ; 4-byte Folded Spill
	ds_store_2addr_b64 v5, v[47:48], v[43:44] offset1:2
	v_and_or_b32 v5, 0x4fc, v59, v64
	v_lshlrev_b32_e32 v64, 1, v12
	s_delay_alu instid0(VALU_DEP_2) | instskip(SKIP_4) | instid1(VALU_DEP_2)
	v_lshlrev_b32_e32 v5, 3, v5
	scratch_store_b32 off, v5, off offset:368 ; 4-byte Folded Spill
	ds_store_2addr_b64 v5, v[49:50], v[45:46] offset1:2
	v_and_or_b32 v5, 0x5fc, v64, v56
	v_lshlrev_b32_e32 v56, 1, v83
	v_lshlrev_b32_e32 v5, 3, v5
	ds_store_2addr_b64 v5, v[0:1], v[51:52] offset1:2
	v_and_or_b32 v0, 0x5fc, v56, v55
	v_and_b32_e32 v55, 3, v74
	v_lshlrev_b32_e32 v1, 3, v78
	s_delay_alu instid0(VALU_DEP_3)
	v_lshlrev_b32_e32 v0, 3, v0
	s_clause 0x1
	scratch_store_b32 off, v5, off offset:364
	scratch_store_b32 off, v0, off offset:360
	ds_store_2addr_b64 v0, v[2:3], v[53:54] offset1:2
	s_waitcnt lgkmcnt(0)
	s_waitcnt_vscnt null, 0x0
	s_barrier
	buffer_gl0_inv
	v_lshlrev_b32_e32 v0, 3, v55
	scratch_store_b32 off, v77, off offset:440 ; 4-byte Folded Spill
	v_and_b32_e32 v77, 3, v77
	global_load_b32 v9, v0, s[10:11] offset:16
	v_lshlrev_b32_e32 v0, 3, v77
	s_clause 0x2
	global_load_b32 v255, v0, s[10:11] offset:20
	global_load_b64 v[221:222], v0, s[10:11] offset:16
	global_load_b64 v[223:224], v1, s[10:11] offset:16
	ds_load_2addr_b64 v[0:3], v69 offset0:116 offset1:179
	scratch_store_b32 off, v12, off offset:448 ; 4-byte Folded Spill
	s_waitcnt vmcnt(3)
	scratch_store_b32 off, v9, off offset:316 ; 4-byte Folded Spill
	s_waitcnt vmcnt(0) lgkmcnt(0)
	v_dual_mul_f32 v8, v2, v222 :: v_dual_mul_f32 v5, v1, v224
	v_mul_f32_e32 v6, v0, v224
	s_delay_alu instid0(VALU_DEP_2) | instskip(NEXT) | instid1(VALU_DEP_3)
	v_fmac_f32_e32 v8, v3, v9
	v_fma_f32 v5, v0, v223, -v5
	v_mul_f32_e32 v0, v3, v222
	s_delay_alu instid0(VALU_DEP_4) | instskip(NEXT) | instid1(VALU_DEP_2)
	v_fmac_f32_e32 v6, v1, v223
	v_fma_f32 v7, v2, v9, -v0
	v_lshlrev_b32_e32 v0, 3, v79
	global_load_b32 v10, v0, s[10:11] offset:16
	v_lshlrev_b32_e32 v0, 3, v80
	global_load_b32 v11, v0, s[10:11] offset:16
	v_lshlrev_b32_e32 v0, 3, v81
	s_clause 0x1
	global_load_b32 v254, v0, s[10:11] offset:20
	global_load_b64 v[225:226], v0, s[10:11] offset:16
	ds_load_2addr_b64 v[0:3], v61 offset0:114 offset1:177
	scratch_store_b32 off, v83, off offset:436 ; 4-byte Folded Spill
	v_and_b32_e32 v83, 3, v83
	s_waitcnt vmcnt(3)
	scratch_store_b32 off, v10, off offset:324 ; 4-byte Folded Spill
	s_waitcnt vmcnt(0) lgkmcnt(0)
	v_mul_f32_e32 v9, v1, v226
	v_mul_f32_e32 v14, v0, v226
	s_delay_alu instid0(VALU_DEP_2) | instskip(SKIP_1) | instid1(VALU_DEP_3)
	v_fma_f32 v13, v0, v10, -v9
	v_lshlrev_b32_e32 v0, 3, v82
	v_dual_fmac_f32 v14, v1, v10 :: v_dual_lshlrev_b32 v1, 3, v83
	s_clause 0x2
	global_load_b64 v[229:230], v0, s[10:11] offset:16
	global_load_b32 v173, v1, s[10:11] offset:20
	global_load_b64 v[227:228], v1, s[10:11] offset:16
	scratch_store_b32 off, v11, off offset:328 ; 4-byte Folded Spill
	s_waitcnt vmcnt(0)
	v_mul_f32_e32 v0, v3, v228
	v_mul_f32_e32 v18, v2, v228
	s_delay_alu instid0(VALU_DEP_2) | instskip(NEXT) | instid1(VALU_DEP_2)
	v_fma_f32 v17, v2, v11, -v0
	v_fmac_f32_e32 v18, v3, v11
	ds_load_2addr_b64 v[0:3], v70 offset0:112 offset1:175
	s_waitcnt lgkmcnt(0)
	v_mul_f32_e32 v9, v1, v224
	v_mul_f32_e32 v28, v0, v224
	s_delay_alu instid0(VALU_DEP_2) | instskip(SKIP_1) | instid1(VALU_DEP_3)
	v_fma_f32 v27, v0, v223, -v9
	v_lshlrev_b32_e32 v0, 3, v84
	v_fmac_f32_e32 v28, v1, v223
	global_load_b64 v[231:232], v0, s[10:11] offset:16
	s_waitcnt vmcnt(0)
	v_mul_f32_e32 v0, v3, v232
	v_mul_f32_e32 v30, v2, v232
	s_delay_alu instid0(VALU_DEP_2) | instskip(NEXT) | instid1(VALU_DEP_2)
	v_fma_f32 v29, v2, v231, -v0
	v_fmac_f32_e32 v30, v3, v231
	ds_load_2addr_b64 v[0:3], v62 offset0:110 offset1:173
	s_waitcnt lgkmcnt(0)
	v_mul_f32_e32 v9, v1, v230
	v_mul_f32_e32 v36, v0, v230
	s_delay_alu instid0(VALU_DEP_2) | instskip(SKIP_1) | instid1(VALU_DEP_3)
	v_fma_f32 v35, v0, v229, -v9
	v_lshlrev_b32_e32 v0, 3, v85
	v_fmac_f32_e32 v36, v1, v229
	global_load_b64 v[233:234], v0, s[10:11] offset:16
	s_waitcnt vmcnt(0)
	v_mul_f32_e32 v0, v3, v234
	v_mul_f32_e32 v38, v2, v234
	s_delay_alu instid0(VALU_DEP_2) | instskip(NEXT) | instid1(VALU_DEP_2)
	v_fma_f32 v37, v2, v233, -v0
	v_fmac_f32_e32 v38, v3, v233
	ds_load_2addr_b64 v[0:3], v72 offset0:108 offset1:171
	s_waitcnt lgkmcnt(0)
	v_mul_f32_e32 v9, v1, v224
	v_mul_f32_e32 v44, v0, v224
	;; [unrolled: 1-line block ×3, first 2 shown]
	s_delay_alu instid0(VALU_DEP_3) | instskip(SKIP_1) | instid1(VALU_DEP_4)
	v_fma_f32 v43, v0, v223, -v9
	v_mul_f32_e32 v0, v3, v255
	v_fmac_f32_e32 v44, v1, v223
	s_delay_alu instid0(VALU_DEP_4) | instskip(NEXT) | instid1(VALU_DEP_3)
	v_fmac_f32_e32 v46, v3, v221
	v_fma_f32 v45, v2, v221, -v0
	ds_load_2addr_b64 v[0:3], v63 offset0:106 offset1:169
	s_waitcnt lgkmcnt(0)
	v_mul_f32_e32 v9, v1, v254
	v_mul_f32_e32 v52, v0, v254
	;; [unrolled: 1-line block ×3, first 2 shown]
	s_delay_alu instid0(VALU_DEP_3) | instskip(SKIP_1) | instid1(VALU_DEP_4)
	v_fma_f32 v51, v0, v225, -v9
	v_mul_f32_e32 v0, v3, v173
	v_fmac_f32_e32 v52, v1, v225
	s_delay_alu instid0(VALU_DEP_4) | instskip(NEXT) | instid1(VALU_DEP_3)
	v_fmac_f32_e32 v54, v3, v227
	v_fma_f32 v53, v2, v227, -v0
	ds_load_2addr_b64 v[0:3], v249 offset1:63
	s_waitcnt lgkmcnt(0)
	v_dual_sub_f32 v5, v0, v5 :: v_dual_sub_f32 v6, v1, v6
	v_dual_sub_f32 v7, v2, v7 :: v_dual_sub_f32 v8, v3, v8
	s_delay_alu instid0(VALU_DEP_2) | instskip(NEXT) | instid1(VALU_DEP_3)
	v_fma_f32 v9, v0, 2.0, -v5
	v_fma_f32 v10, v1, 2.0, -v6
	s_delay_alu instid0(VALU_DEP_3) | instskip(NEXT) | instid1(VALU_DEP_4)
	v_fma_f32 v11, v2, 2.0, -v7
	v_fma_f32 v12, v3, 2.0, -v8
	ds_load_2addr_b64 v[0:3], v249 offset0:126 offset1:189
	s_waitcnt lgkmcnt(0)
	v_dual_sub_f32 v13, v0, v13 :: v_dual_sub_f32 v14, v1, v14
	v_dual_sub_f32 v17, v2, v17 :: v_dual_sub_f32 v18, v3, v18
	s_delay_alu instid0(VALU_DEP_2) | instskip(NEXT) | instid1(VALU_DEP_3)
	v_fma_f32 v19, v0, 2.0, -v13
	v_fma_f32 v20, v1, 2.0, -v14
	s_delay_alu instid0(VALU_DEP_3) | instskip(NEXT) | instid1(VALU_DEP_4)
	v_fma_f32 v21, v2, 2.0, -v17
	v_fma_f32 v22, v3, 2.0, -v18
	ds_load_2addr_b64 v[0:3], v71 offset0:124 offset1:187
	;; [unrolled: 10-line block ×5, first 2 shown]
	s_waitcnt lgkmcnt(0)
	s_waitcnt_vscnt null, 0x0
	s_barrier
	buffer_gl0_inv
	ds_store_2addr_b64 v15, v[9:10], v[5:6] offset1:4
	v_and_or_b32 v5, 0xf8, v65, v55
	s_delay_alu instid0(VALU_DEP_1) | instskip(SKIP_4) | instid1(VALU_DEP_2)
	v_lshlrev_b32_e32 v5, 3, v5
	scratch_store_b32 off, v5, off offset:352 ; 4-byte Folded Spill
	ds_store_2addr_b64 v5, v[11:12], v[7:8] offset1:4
	v_and_or_b32 v5, 0x1f8, v23, v79
	v_dual_sub_f32 v51, v0, v51 :: v_dual_sub_f32 v52, v1, v52
	v_lshlrev_b32_e32 v5, 3, v5
	v_dual_sub_f32 v53, v2, v53 :: v_dual_sub_f32 v54, v3, v54
	s_delay_alu instid0(VALU_DEP_3) | instskip(NEXT) | instid1(VALU_DEP_4)
	v_fma_f32 v0, v0, 2.0, -v51
	v_fma_f32 v1, v1, 2.0, -v52
	scratch_store_b32 off, v5, off offset:348 ; 4-byte Folded Spill
	ds_store_2addr_b64 v5, v[19:20], v[13:14] offset1:4
	v_and_or_b32 v5, 0x1f8, v66, v80
	v_fma_f32 v2, v2, 2.0, -v53
	v_fma_f32 v3, v3, 2.0, -v54
	s_delay_alu instid0(VALU_DEP_3) | instskip(SKIP_3) | instid1(VALU_DEP_1)
	v_lshlrev_b32_e32 v5, 3, v5
	scratch_store_b32 off, v5, off offset:344 ; 4-byte Folded Spill
	ds_store_2addr_b64 v5, v[21:22], v[17:18] offset1:4
	v_and_or_b32 v5, 0x3f8, v57, v78
	v_lshlrev_b32_e32 v5, 3, v5
	scratch_store_b32 off, v5, off offset:340 ; 4-byte Folded Spill
	ds_store_2addr_b64 v5, v[31:32], v[27:28] offset1:4
	v_and_or_b32 v5, 0x2f8, v67, v84
	v_and_b32_e32 v31, 7, v176
	s_delay_alu instid0(VALU_DEP_2) | instskip(SKIP_4) | instid1(VALU_DEP_2)
	v_lshlrev_b32_e32 v5, 3, v5
	scratch_store_b32 off, v5, off offset:336 ; 4-byte Folded Spill
	ds_store_2addr_b64 v5, v[33:34], v[29:30] offset1:4
	v_and_or_b32 v5, 0x3f8, v58, v82
	v_and_b32_e32 v30, 7, v4
	v_lshlrev_b32_e32 v5, 3, v5
	scratch_store_b32 off, v5, off offset:332 ; 4-byte Folded Spill
	ds_store_2addr_b64 v5, v[39:40], v[35:36] offset1:4
	v_and_or_b32 v5, 0x3f8, v76, v85
	v_and_b32_e32 v40, 7, v16
	s_delay_alu instid0(VALU_DEP_2) | instskip(SKIP_4) | instid1(VALU_DEP_2)
	v_lshlrev_b32_e32 v5, 3, v5
	scratch_store_b32 off, v5, off offset:320 ; 4-byte Folded Spill
	ds_store_2addr_b64 v5, v[41:42], v[37:38] offset1:4
	v_and_or_b32 v5, 0x7f8, v86, v78
	v_and_b32_e32 v41, 7, v26
	v_lshlrev_b32_e32 v5, 3, v5
	scratch_store_b32 off, v5, off offset:312 ; 4-byte Folded Spill
	ds_store_2addr_b64 v5, v[47:48], v[43:44] offset1:4
	v_and_or_b32 v5, 0x4f8, v59, v77
	v_and_b32_e32 v77, 0xff, v176
	s_delay_alu instid0(VALU_DEP_2)
	v_lshlrev_b32_e32 v5, 3, v5
	s_clause 0x1
	scratch_store_b32 off, v86, off offset:444
	scratch_store_b32 off, v5, off offset:308
	ds_store_2addr_b64 v5, v[49:50], v[45:46] offset1:4
	v_and_or_b32 v5, 0x5f8, v64, v81
	v_and_b32_e32 v50, 7, v25
	s_delay_alu instid0(VALU_DEP_2) | instskip(SKIP_3) | instid1(VALU_DEP_2)
	v_lshlrev_b32_e32 v5, 3, v5
	ds_store_2addr_b64 v5, v[0:1], v[51:52] offset1:4
	v_and_or_b32 v0, 0x5f8, v56, v83
	v_and_b32_e32 v51, 7, v24
	v_lshlrev_b32_e32 v0, 3, v0
	s_clause 0x1
	scratch_store_b32 off, v15, off offset:356
	scratch_store_b32 off, v5, off offset:304
	v_and_b32_e32 v5, 7, v172
	v_and_b32_e32 v15, 7, v74
	scratch_store_b32 off, v0, off offset:300 ; 4-byte Folded Spill
	ds_store_2addr_b64 v0, v[2:3], v[53:54] offset1:4
	s_waitcnt lgkmcnt(0)
	s_waitcnt_vscnt null, 0x0
	v_lshlrev_b32_e32 v0, 4, v5
	v_lshlrev_b32_e32 v1, 4, v15
	s_barrier
	buffer_gl0_inv
	s_clause 0x1
	global_load_b128 v[124:127], v0, s[10:11] offset:48
	global_load_b128 v[116:119], v1, s[10:11] offset:48
	ds_load_2addr_b64 v[0:3], v73 offset0:120 offset1:183
	s_waitcnt vmcnt(1) lgkmcnt(0)
	v_mul_f32_e32 v6, v1, v125
	v_mul_f32_e32 v7, v0, v125
	s_waitcnt vmcnt(0)
	v_mul_f32_e32 v27, v2, v117
	s_delay_alu instid0(VALU_DEP_3) | instskip(NEXT) | instid1(VALU_DEP_3)
	v_fma_f32 v6, v0, v124, -v6
	v_dual_mul_f32 v0, v3, v117 :: v_dual_fmac_f32 v7, v1, v124
	s_delay_alu instid0(VALU_DEP_3) | instskip(NEXT) | instid1(VALU_DEP_2)
	v_fmac_f32_e32 v27, v3, v116
	v_fma_f32 v23, v2, v116, -v0
	ds_load_2addr_b64 v[0:3], v70 offset0:112 offset1:175
	s_waitcnt lgkmcnt(0)
	v_mul_f32_e32 v8, v1, v127
	v_mul_f32_e32 v9, v0, v127
	;; [unrolled: 1-line block ×3, first 2 shown]
	s_delay_alu instid0(VALU_DEP_3) | instskip(NEXT) | instid1(VALU_DEP_3)
	v_fma_f32 v8, v0, v126, -v8
	v_dual_mul_f32 v0, v3, v119 :: v_dual_fmac_f32 v9, v1, v126
	v_lshlrev_b32_e32 v1, 4, v31
	s_delay_alu instid0(VALU_DEP_4) | instskip(NEXT) | instid1(VALU_DEP_4)
	v_fmac_f32_e32 v29, v3, v118
	v_sub_f32_e32 v65, v6, v8
	s_delay_alu instid0(VALU_DEP_4)
	v_fma_f32 v28, v2, v118, -v0
	v_lshlrev_b32_e32 v0, 4, v30
	s_clause 0x1
	global_load_b128 v[120:123], v0, s[10:11] offset:48
	global_load_b128 v[108:111], v1, s[10:11] offset:48
	ds_load_2addr_b64 v[0:3], v68 offset0:118 offset1:181
	s_waitcnt vmcnt(1) lgkmcnt(0)
	v_mul_f32_e32 v10, v1, v121
	v_mul_f32_e32 v33, v0, v121
	s_waitcnt vmcnt(0)
	v_mul_f32_e32 v35, v2, v109
	s_delay_alu instid0(VALU_DEP_3) | instskip(NEXT) | instid1(VALU_DEP_3)
	v_fma_f32 v32, v0, v120, -v10
	v_dual_mul_f32 v0, v3, v109 :: v_dual_fmac_f32 v33, v1, v120
	s_delay_alu instid0(VALU_DEP_3) | instskip(NEXT) | instid1(VALU_DEP_2)
	v_fmac_f32_e32 v35, v3, v108
	v_fma_f32 v34, v2, v108, -v0
	ds_load_2addr_b64 v[0:3], v62 offset0:110 offset1:173
	s_waitcnt lgkmcnt(0)
	v_mul_f32_e32 v10, v1, v123
	v_mul_f32_e32 v37, v0, v123
	;; [unrolled: 1-line block ×3, first 2 shown]
	s_delay_alu instid0(VALU_DEP_3) | instskip(NEXT) | instid1(VALU_DEP_3)
	v_fma_f32 v36, v0, v122, -v10
	v_dual_mul_f32 v0, v3, v111 :: v_dual_fmac_f32 v37, v1, v122
	v_lshlrev_b32_e32 v1, 4, v41
	s_delay_alu instid0(VALU_DEP_4) | instskip(NEXT) | instid1(VALU_DEP_3)
	v_fmac_f32_e32 v39, v3, v110
	v_fma_f32 v38, v2, v110, -v0
	v_lshlrev_b32_e32 v0, 4, v40
	s_clause 0x1
	global_load_b128 v[112:115], v0, s[10:11] offset:48
	global_load_b128 v[100:103], v1, s[10:11] offset:48
	ds_load_2addr_b64 v[0:3], v69 offset0:116 offset1:179
	s_waitcnt vmcnt(1) lgkmcnt(0)
	v_mul_f32_e32 v10, v1, v113
	v_mul_f32_e32 v43, v0, v113
	s_waitcnt vmcnt(0)
	v_mul_f32_e32 v45, v2, v101
	s_delay_alu instid0(VALU_DEP_3) | instskip(NEXT) | instid1(VALU_DEP_3)
	v_fma_f32 v42, v0, v112, -v10
	v_dual_mul_f32 v0, v3, v101 :: v_dual_fmac_f32 v43, v1, v112
	s_delay_alu instid0(VALU_DEP_3) | instskip(NEXT) | instid1(VALU_DEP_2)
	v_fmac_f32_e32 v45, v3, v100
	v_fma_f32 v44, v2, v100, -v0
	ds_load_2addr_b64 v[0:3], v72 offset0:108 offset1:171
	s_waitcnt lgkmcnt(0)
	v_mul_f32_e32 v49, v2, v103
	v_mul_f32_e32 v47, v0, v115
	s_delay_alu instid0(VALU_DEP_2) | instskip(NEXT) | instid1(VALU_DEP_2)
	v_dual_fmac_f32 v49, v3, v102 :: v_dual_mul_f32 v10, v1, v115
	v_fmac_f32_e32 v47, v1, v114
	v_lshlrev_b32_e32 v1, 4, v51
	s_delay_alu instid0(VALU_DEP_3) | instskip(SKIP_1) | instid1(VALU_DEP_1)
	v_fma_f32 v46, v0, v114, -v10
	v_mul_f32_e32 v0, v3, v103
	v_fma_f32 v48, v2, v102, -v0
	v_lshlrev_b32_e32 v0, 4, v50
	s_clause 0x1
	global_load_b128 v[104:107], v0, s[10:11] offset:48
	global_load_b128 v[96:99], v1, s[10:11] offset:48
	ds_load_2addr_b64 v[0:3], v61 offset0:114 offset1:177
	s_waitcnt vmcnt(1) lgkmcnt(0)
	v_mul_f32_e32 v10, v1, v105
	v_mul_f32_e32 v53, v0, v105
	s_waitcnt vmcnt(0)
	v_mul_f32_e32 v55, v2, v97
	s_delay_alu instid0(VALU_DEP_3) | instskip(NEXT) | instid1(VALU_DEP_3)
	v_fma_f32 v52, v0, v104, -v10
	v_dual_mul_f32 v0, v3, v97 :: v_dual_fmac_f32 v53, v1, v104
	s_delay_alu instid0(VALU_DEP_3) | instskip(NEXT) | instid1(VALU_DEP_2)
	v_fmac_f32_e32 v55, v3, v96
	v_fma_f32 v54, v2, v96, -v0
	ds_load_2addr_b64 v[0:3], v63 offset0:106 offset1:169
	s_waitcnt lgkmcnt(0)
	v_mul_f32_e32 v57, v0, v107
	v_mul_f32_e32 v59, v2, v99
	s_delay_alu instid0(VALU_DEP_2) | instskip(NEXT) | instid1(VALU_DEP_2)
	v_fmac_f32_e32 v57, v1, v106
	v_dual_mul_f32 v10, v1, v107 :: v_dual_fmac_f32 v59, v3, v98
	v_sub_f32_e32 v64, v7, v9
	s_delay_alu instid0(VALU_DEP_2) | instskip(SKIP_1) | instid1(VALU_DEP_1)
	v_fma_f32 v56, v0, v106, -v10
	v_mul_f32_e32 v0, v3, v99
	v_fma_f32 v58, v2, v98, -v0
	v_lshrrev_b32_e32 v0, 3, v172
	s_delay_alu instid0(VALU_DEP_1) | instskip(NEXT) | instid1(VALU_DEP_1)
	v_mul_u32_u24_e32 v0, 24, v0
	v_or_b32_e32 v5, v0, v5
	ds_load_2addr_b64 v[0:3], v249 offset1:63
	v_lshlrev_b32_e32 v66, 3, v5
	s_waitcnt lgkmcnt(0)
	v_dual_add_f32 v10, v1, v7 :: v_dual_add_f32 v7, v7, v9
	s_delay_alu instid0(VALU_DEP_1) | instskip(NEXT) | instid1(VALU_DEP_2)
	v_dual_add_f32 v14, v10, v9 :: v_dual_add_f32 v9, v0, v6
	v_fma_f32 v1, -0.5, v7, v1
	s_delay_alu instid0(VALU_DEP_2) | instskip(NEXT) | instid1(VALU_DEP_2)
	v_add_f32_e32 v13, v9, v8
	v_dual_add_f32 v9, v6, v8 :: v_dual_fmamk_f32 v22, v65, 0xbf5db3d7, v1
	v_fmac_f32_e32 v1, 0x3f5db3d7, v65
	s_delay_alu instid0(VALU_DEP_2)
	v_fma_f32 v0, -0.5, v9, v0
	ds_load_2addr_b64 v[5:8], v249 offset0:126 offset1:189
	ds_load_2addr_b64 v[9:12], v71 offset0:124 offset1:187
	;; [unrolled: 1-line block ×3, first 2 shown]
	s_waitcnt lgkmcnt(0)
	s_barrier
	buffer_gl0_inv
	v_fmamk_f32 v21, v64, 0x3f5db3d7, v0
	v_fmac_f32_e32 v0, 0xbf5db3d7, v64
	ds_store_2addr_b64 v66, v[13:14], v[21:22] offset1:8
	ds_store_b64 v66, v[0:1] offset:128
	v_lshrrev_b32_e32 v0, 3, v74
	v_add_f32_e32 v14, v27, v29
	v_add_f32_e32 v21, v23, v28
	v_sub_f32_e32 v22, v23, v28
	s_delay_alu instid0(VALU_DEP_4) | instskip(NEXT) | instid1(VALU_DEP_1)
	v_mul_u32_u24_e32 v0, 24, v0
	v_or_b32_e32 v13, v0, v15
	v_add_f32_e32 v0, v3, v27
	v_sub_f32_e32 v15, v27, v29
	v_fmac_f32_e32 v3, -0.5, v14
	s_delay_alu instid0(VALU_DEP_3) | instskip(SKIP_1) | instid1(VALU_DEP_3)
	v_dual_add_f32 v1, v0, v29 :: v_dual_add_f32 v0, v2, v23
	v_fma_f32 v2, -0.5, v21, v2
	v_dual_fmamk_f32 v14, v22, 0xbf5db3d7, v3 :: v_dual_lshlrev_b32 v21, 3, v13
	s_delay_alu instid0(VALU_DEP_3) | instskip(NEXT) | instid1(VALU_DEP_3)
	v_dual_fmac_f32 v3, 0x3f5db3d7, v22 :: v_dual_add_f32 v0, v0, v28
	v_fmamk_f32 v13, v15, 0x3f5db3d7, v2
	v_dual_fmac_f32 v2, 0xbf5db3d7, v15 :: v_dual_sub_f32 v15, v32, v36
	ds_store_2addr_b64 v21, v[0:1], v[13:14] offset1:8
	v_lshrrev_b32_e32 v0, 3, v4
	ds_store_b64 v21, v[2:3] offset:128
	v_dual_add_f32 v3, v33, v37 :: v_dual_add_f32 v2, v32, v36
	v_sub_f32_e32 v14, v33, v37
	v_mul_u32_u24_e32 v0, 24, v0
	s_delay_alu instid0(VALU_DEP_3) | instskip(NEXT) | instid1(VALU_DEP_4)
	v_fma_f32 v3, -0.5, v3, v6
	v_fma_f32 v2, -0.5, v2, v5
	s_delay_alu instid0(VALU_DEP_3) | instskip(SKIP_1) | instid1(VALU_DEP_4)
	v_or_b32_e32 v13, v0, v30
	v_add_f32_e32 v0, v6, v33
	v_fmamk_f32 v6, v15, 0xbf5db3d7, v3
	v_fmac_f32_e32 v3, 0x3f5db3d7, v15
	s_delay_alu instid0(VALU_DEP_4) | instskip(NEXT) | instid1(VALU_DEP_4)
	v_lshlrev_b32_e32 v13, 3, v13
	v_dual_add_f32 v1, v0, v37 :: v_dual_add_f32 v0, v5, v32
	v_fmamk_f32 v5, v14, 0x3f5db3d7, v2
	v_fmac_f32_e32 v2, 0xbf5db3d7, v14
	s_delay_alu instid0(VALU_DEP_3)
	v_add_f32_e32 v0, v0, v36
	ds_store_b64 v13, v[2:3] offset:128
	v_add_f32_e32 v3, v35, v39
	ds_store_2addr_b64 v13, v[0:1], v[5:6] offset1:8
	v_lshrrev_b32_e32 v0, 3, v176
	v_dual_add_f32 v6, v34, v38 :: v_dual_sub_f32 v5, v35, v39
	s_delay_alu instid0(VALU_DEP_2) | instskip(NEXT) | instid1(VALU_DEP_1)
	v_mul_u32_u24_e32 v0, 24, v0
	v_or_b32_e32 v2, v0, v31
	v_add_f32_e32 v0, v8, v35
	v_dual_fmac_f32 v8, -0.5, v3 :: v_dual_and_b32 v31, 0xff, v4
	s_delay_alu instid0(VALU_DEP_2)
	v_dual_add_f32 v1, v0, v39 :: v_dual_add_f32 v0, v7, v34
	v_fma_f32 v7, -0.5, v6, v7
	v_lshlrev_b32_e32 v6, 3, v2
	scratch_store_b32 off, v13, off offset:292 ; 4-byte Folded Spill
	v_sub_f32_e32 v13, v34, v38
	v_add_f32_e32 v0, v0, v38
	v_fmamk_f32 v2, v5, 0x3f5db3d7, v7
	v_fmac_f32_e32 v7, 0xbf5db3d7, v5
	scratch_store_b32 off, v6, off offset:288 ; 4-byte Folded Spill
	v_fmamk_f32 v3, v13, 0xbf5db3d7, v8
	v_fmac_f32_e32 v8, 0x3f5db3d7, v13
	ds_store_2addr_b64 v6, v[0:1], v[2:3] offset1:8
	v_lshrrev_b32_e32 v0, 3, v16
	v_dual_add_f32 v3, v43, v47 :: v_dual_add_f32 v2, v42, v46
	ds_store_b64 v6, v[7:8] offset:128
	v_sub_f32_e32 v7, v43, v47
	v_mul_u32_u24_e32 v0, 24, v0
	v_sub_f32_e32 v8, v42, v46
	v_fma_f32 v2, -0.5, v2, v9
	v_fma_f32 v3, -0.5, v3, v10
	s_delay_alu instid0(VALU_DEP_4) | instskip(SKIP_1) | instid1(VALU_DEP_3)
	v_or_b32_e32 v5, v0, v40
	v_add_f32_e32 v0, v10, v43
	v_fmamk_f32 v6, v8, 0xbf5db3d7, v3
	v_fmac_f32_e32 v3, 0x3f5db3d7, v8
	v_sub_f32_e32 v8, v52, v56
	s_delay_alu instid0(VALU_DEP_4) | instskip(SKIP_3) | instid1(VALU_DEP_4)
	v_dual_add_f32 v1, v0, v47 :: v_dual_add_f32 v0, v9, v42
	v_lshlrev_b32_e32 v9, 3, v5
	v_fmamk_f32 v5, v7, 0x3f5db3d7, v2
	v_dual_fmac_f32 v2, 0xbf5db3d7, v7 :: v_dual_sub_f32 v7, v44, v48
	v_add_f32_e32 v0, v0, v46
	ds_store_b64 v9, v[2:3] offset:128
	v_add_f32_e32 v3, v45, v49
	ds_store_2addr_b64 v9, v[0:1], v[5:6] offset1:8
	v_lshrrev_b32_e32 v0, 3, v26
	v_dual_add_f32 v6, v44, v48 :: v_dual_sub_f32 v5, v45, v49
	s_delay_alu instid0(VALU_DEP_2) | instskip(NEXT) | instid1(VALU_DEP_1)
	v_mul_u32_u24_e32 v0, 24, v0
	v_or_b32_e32 v2, v0, v41
	v_add_f32_e32 v0, v12, v45
	s_delay_alu instid0(VALU_DEP_1) | instskip(SKIP_2) | instid1(VALU_DEP_3)
	v_dual_fmac_f32 v12, -0.5, v3 :: v_dual_add_f32 v1, v0, v49
	v_add_f32_e32 v0, v11, v44
	v_fma_f32 v11, -0.5, v6, v11
	v_dual_fmamk_f32 v3, v7, 0xbf5db3d7, v12 :: v_dual_lshlrev_b32 v6, 3, v2
	v_fmac_f32_e32 v12, 0x3f5db3d7, v7
	s_delay_alu instid0(VALU_DEP_4) | instskip(NEXT) | instid1(VALU_DEP_4)
	v_add_f32_e32 v0, v0, v48
	v_fmamk_f32 v2, v5, 0x3f5db3d7, v11
	v_fmac_f32_e32 v11, 0xbf5db3d7, v5
	v_sub_f32_e32 v7, v53, v57
	s_clause 0x2
	scratch_store_b32 off, v21, off offset:296
	scratch_store_b32 off, v9, off offset:280
	;; [unrolled: 1-line block ×3, first 2 shown]
	ds_store_2addr_b64 v6, v[0:1], v[2:3] offset1:8
	v_lshrrev_b32_e32 v0, 3, v25
	v_dual_add_f32 v3, v53, v57 :: v_dual_add_f32 v2, v52, v56
	ds_store_b64 v6, v[11:12] offset:128
	v_mul_u32_u24_e32 v0, 24, v0
	v_fma_f32 v3, -0.5, v3, v18
	v_fma_f32 v2, -0.5, v2, v17
	s_delay_alu instid0(VALU_DEP_3) | instskip(SKIP_1) | instid1(VALU_DEP_4)
	v_or_b32_e32 v5, v0, v50
	v_add_f32_e32 v0, v18, v53
	v_fmamk_f32 v6, v8, 0xbf5db3d7, v3
	v_fmac_f32_e32 v3, 0x3f5db3d7, v8
	s_delay_alu instid0(VALU_DEP_4) | instskip(NEXT) | instid1(VALU_DEP_4)
	v_lshlrev_b32_e32 v9, 3, v5
	v_dual_add_f32 v1, v0, v57 :: v_dual_add_f32 v0, v17, v52
	v_fmamk_f32 v5, v7, 0x3f5db3d7, v2
	v_dual_fmac_f32 v2, 0xbf5db3d7, v7 :: v_dual_sub_f32 v7, v54, v58
	s_delay_alu instid0(VALU_DEP_3)
	v_add_f32_e32 v0, v0, v56
	ds_store_b64 v9, v[2:3] offset:128
	v_add_f32_e32 v3, v55, v59
	ds_store_2addr_b64 v9, v[0:1], v[5:6] offset1:8
	v_lshrrev_b32_e32 v0, 3, v24
	v_dual_add_f32 v6, v54, v58 :: v_dual_sub_f32 v5, v55, v59
	s_delay_alu instid0(VALU_DEP_2) | instskip(NEXT) | instid1(VALU_DEP_1)
	v_mul_u32_u24_e32 v0, 24, v0
	v_or_b32_e32 v2, v0, v51
	v_add_f32_e32 v0, v20, v55
	v_fmac_f32_e32 v20, -0.5, v3
	s_delay_alu instid0(VALU_DEP_2) | instskip(SKIP_1) | instid1(VALU_DEP_3)
	v_dual_add_f32 v1, v0, v59 :: v_dual_add_f32 v0, v19, v54
	v_fma_f32 v19, -0.5, v6, v19
	v_dual_fmamk_f32 v3, v7, 0xbf5db3d7, v20 :: v_dual_lshlrev_b32 v6, 3, v2
	v_fmac_f32_e32 v20, 0x3f5db3d7, v7
	s_delay_alu instid0(VALU_DEP_4) | instskip(NEXT) | instid1(VALU_DEP_4)
	v_add_f32_e32 v0, v0, v58
	v_fmamk_f32 v2, v5, 0x3f5db3d7, v19
	v_fmac_f32_e32 v19, 0xbf5db3d7, v5
	s_clause 0x2
	scratch_store_b32 off, v66, off offset:284
	scratch_store_b32 off, v9, off offset:272
	;; [unrolled: 1-line block ×3, first 2 shown]
	ds_store_2addr_b64 v6, v[0:1], v[2:3] offset1:8
	v_and_b32_e32 v0, 0xff, v60
	v_and_b32_e32 v1, 0xff, v74
	ds_store_b64 v6, v[19:20] offset:128
	s_waitcnt lgkmcnt(0)
	s_waitcnt_vscnt null, 0x0
	s_barrier
	v_mul_lo_u16 v0, 0xab, v0
	v_mul_lo_u16 v1, 0xab, v1
	buffer_gl0_inv
	v_lshrrev_b16 v5, 12, v0
	v_lshrrev_b16 v15, 12, v1
	s_delay_alu instid0(VALU_DEP_2) | instskip(NEXT) | instid1(VALU_DEP_2)
	v_mul_lo_u16 v0, v5, 24
	v_mul_lo_u16 v1, v15, 24
	;; [unrolled: 1-line block ×3, first 2 shown]
	s_delay_alu instid0(VALU_DEP_3) | instskip(NEXT) | instid1(VALU_DEP_3)
	v_sub_nc_u16 v0, v60, v0
	v_sub_nc_u16 v1, v74, v1
	s_delay_alu instid0(VALU_DEP_3) | instskip(NEXT) | instid1(VALU_DEP_3)
	v_and_b32_e32 v5, 0xf8, v5
	v_and_b32_e32 v6, 0xff, v0
	s_delay_alu instid0(VALU_DEP_3) | instskip(NEXT) | instid1(VALU_DEP_2)
	v_and_b32_e32 v23, 0xff, v1
	v_lshlrev_b32_e32 v0, 4, v6
	s_delay_alu instid0(VALU_DEP_2)
	v_lshlrev_b32_e32 v1, 4, v23
	s_clause 0x1
	global_load_b128 v[64:67], v0, s[10:11] offset:176
	global_load_b128 v[44:47], v1, s[10:11] offset:176
	ds_load_2addr_b64 v[0:3], v73 offset0:120 offset1:183
	v_add_lshl_u32 v152, v5, v6, 3
	s_waitcnt vmcnt(1) lgkmcnt(0)
	v_mul_f32_e32 v7, v1, v65
	v_mul_f32_e32 v8, v0, v65
	s_waitcnt vmcnt(0)
	v_mul_f32_e32 v28, v2, v45
	s_delay_alu instid0(VALU_DEP_3) | instskip(SKIP_2) | instid1(VALU_DEP_4)
	v_fma_f32 v7, v0, v64, -v7
	v_mul_f32_e32 v0, v3, v45
	v_fmac_f32_e32 v8, v1, v64
	v_fmac_f32_e32 v28, v3, v44
	s_delay_alu instid0(VALU_DEP_3)
	v_fma_f32 v27, v2, v44, -v0
	ds_load_2addr_b64 v[0:3], v70 offset0:112 offset1:175
	s_waitcnt lgkmcnt(0)
	v_mul_f32_e32 v9, v1, v67
	v_mul_f32_e32 v10, v0, v67
	v_mul_f32_e32 v30, v2, v47
	s_delay_alu instid0(VALU_DEP_3) | instskip(SKIP_1) | instid1(VALU_DEP_4)
	v_fma_f32 v9, v0, v66, -v9
	v_mul_f32_e32 v0, v3, v47
	v_fmac_f32_e32 v10, v1, v66
	s_delay_alu instid0(VALU_DEP_4) | instskip(NEXT) | instid1(VALU_DEP_4)
	v_fmac_f32_e32 v30, v3, v46
	v_sub_f32_e32 v150, v7, v9
	s_delay_alu instid0(VALU_DEP_4) | instskip(SKIP_2) | instid1(VALU_DEP_2)
	v_fma_f32 v29, v2, v46, -v0
	v_mul_lo_u16 v0, 0xab, v31
	v_sub_f32_e32 v149, v8, v10
	v_lshrrev_b16 v76, 12, v0
	v_mul_lo_u16 v0, 0xab, v77
	s_delay_alu instid0(VALU_DEP_1) | instskip(NEXT) | instid1(VALU_DEP_3)
	v_lshrrev_b16 v78, 12, v0
	v_mul_lo_u16 v0, v76, 24
	s_delay_alu instid0(VALU_DEP_2) | instskip(NEXT) | instid1(VALU_DEP_2)
	v_mul_lo_u16 v1, v78, 24
	v_sub_nc_u16 v0, v4, v0
	s_delay_alu instid0(VALU_DEP_2) | instskip(NEXT) | instid1(VALU_DEP_2)
	v_sub_nc_u16 v1, v176, v1
	v_and_b32_e32 v79, 0xff, v0
	s_delay_alu instid0(VALU_DEP_2) | instskip(NEXT) | instid1(VALU_DEP_2)
	v_and_b32_e32 v80, 0xff, v1
	v_lshlrev_b32_e32 v0, 4, v79
	s_delay_alu instid0(VALU_DEP_2)
	v_lshlrev_b32_e32 v1, 4, v80
	s_clause 0x1
	global_load_b128 v[48:51], v0, s[10:11] offset:176
	global_load_b128 v[32:35], v1, s[10:11] offset:176
	ds_load_2addr_b64 v[0:3], v68 offset0:118 offset1:181
	s_waitcnt vmcnt(1) lgkmcnt(0)
	v_mul_f32_e32 v11, v1, v49
	v_mul_f32_e32 v82, v0, v49
	s_waitcnt vmcnt(0)
	v_mul_f32_e32 v84, v2, v33
	s_delay_alu instid0(VALU_DEP_3) | instskip(SKIP_2) | instid1(VALU_DEP_4)
	v_fma_f32 v81, v0, v48, -v11
	v_mul_f32_e32 v0, v3, v33
	v_fmac_f32_e32 v82, v1, v48
	v_fmac_f32_e32 v84, v3, v32
	s_delay_alu instid0(VALU_DEP_3)
	v_fma_f32 v83, v2, v32, -v0
	ds_load_2addr_b64 v[0:3], v62 offset0:110 offset1:173
	s_waitcnt lgkmcnt(0)
	v_mul_f32_e32 v11, v1, v51
	v_mul_f32_e32 v86, v0, v51
	;; [unrolled: 1-line block ×3, first 2 shown]
	s_delay_alu instid0(VALU_DEP_3) | instskip(SKIP_1) | instid1(VALU_DEP_4)
	v_fma_f32 v85, v0, v50, -v11
	v_mul_f32_e32 v0, v3, v35
	v_fmac_f32_e32 v86, v1, v50
	s_delay_alu instid0(VALU_DEP_4) | instskip(NEXT) | instid1(VALU_DEP_3)
	v_fmac_f32_e32 v88, v3, v34
	v_fma_f32 v87, v2, v34, -v0
	v_mul_u32_u24_e32 v0, 0xaaab, v89
	s_delay_alu instid0(VALU_DEP_1) | instskip(SKIP_1) | instid1(VALU_DEP_1)
	v_lshrrev_b32_e32 v90, 20, v0
	v_mul_u32_u24_e32 v0, 0xaaab, v91
	v_lshrrev_b32_e32 v92, 20, v0
	s_delay_alu instid0(VALU_DEP_3) | instskip(NEXT) | instid1(VALU_DEP_1)
	v_mul_lo_u16 v0, v90, 24
	v_sub_nc_u16 v93, v16, v0
	s_delay_alu instid0(VALU_DEP_3) | instskip(NEXT) | instid1(VALU_DEP_1)
	v_mul_lo_u16 v0, v92, 24
	v_sub_nc_u16 v94, v26, v0
	s_delay_alu instid0(VALU_DEP_3) | instskip(NEXT) | instid1(VALU_DEP_2)
	v_lshlrev_b16 v0, 4, v93
	v_lshlrev_b16 v1, 4, v94
	s_delay_alu instid0(VALU_DEP_2) | instskip(NEXT) | instid1(VALU_DEP_2)
	v_and_b32_e32 v0, 0xffff, v0
	v_and_b32_e32 v2, 0xffff, v1
	s_delay_alu instid0(VALU_DEP_2) | instskip(NEXT) | instid1(VALU_DEP_1)
	v_add_co_u32 v0, s2, s10, v0
	v_add_co_ci_u32_e64 v1, null, s11, 0, s2
	s_delay_alu instid0(VALU_DEP_3) | instskip(NEXT) | instid1(VALU_DEP_1)
	v_add_co_u32 v2, s2, s10, v2
	v_add_co_ci_u32_e64 v3, null, s11, 0, s2
	s_clause 0x1
	global_load_b128 v[52:55], v[0:1], off offset:176
	global_load_b128 v[36:39], v[2:3], off offset:176
	ds_load_2addr_b64 v[0:3], v69 offset0:116 offset1:179
	s_waitcnt vmcnt(1) lgkmcnt(0)
	v_mul_f32_e32 v11, v1, v53
	v_mul_f32_e32 v128, v0, v53
	s_waitcnt vmcnt(0)
	v_mul_f32_e32 v130, v2, v37
	s_delay_alu instid0(VALU_DEP_3) | instskip(SKIP_2) | instid1(VALU_DEP_4)
	v_fma_f32 v95, v0, v52, -v11
	v_mul_f32_e32 v0, v3, v37
	v_fmac_f32_e32 v128, v1, v52
	v_fmac_f32_e32 v130, v3, v36
	s_delay_alu instid0(VALU_DEP_3)
	v_fma_f32 v129, v2, v36, -v0
	ds_load_2addr_b64 v[0:3], v72 offset0:108 offset1:171
	s_waitcnt lgkmcnt(0)
	v_mul_f32_e32 v11, v1, v55
	v_mul_f32_e32 v132, v0, v55
	;; [unrolled: 1-line block ×3, first 2 shown]
	s_delay_alu instid0(VALU_DEP_3) | instskip(SKIP_1) | instid1(VALU_DEP_4)
	v_fma_f32 v131, v0, v54, -v11
	v_mul_f32_e32 v0, v3, v39
	v_fmac_f32_e32 v132, v1, v54
	s_delay_alu instid0(VALU_DEP_4) | instskip(NEXT) | instid1(VALU_DEP_3)
	v_fmac_f32_e32 v134, v3, v38
	v_fma_f32 v133, v2, v38, -v0
	v_mul_u32_u24_e32 v0, 0xaaab, v135
	s_delay_alu instid0(VALU_DEP_1) | instskip(SKIP_1) | instid1(VALU_DEP_1)
	v_lshrrev_b32_e32 v136, 20, v0
	v_mul_u32_u24_e32 v0, 0xaaab, v137
	v_lshrrev_b32_e32 v138, 20, v0
	s_delay_alu instid0(VALU_DEP_3) | instskip(NEXT) | instid1(VALU_DEP_1)
	v_mul_lo_u16 v0, v136, 24
	v_sub_nc_u16 v139, v25, v0
	s_delay_alu instid0(VALU_DEP_3) | instskip(NEXT) | instid1(VALU_DEP_1)
	v_mul_lo_u16 v0, v138, 24
	v_sub_nc_u16 v140, v24, v0
	s_delay_alu instid0(VALU_DEP_3) | instskip(NEXT) | instid1(VALU_DEP_2)
	v_lshlrev_b16 v0, 4, v139
	v_lshlrev_b16 v1, 4, v140
	s_delay_alu instid0(VALU_DEP_2) | instskip(NEXT) | instid1(VALU_DEP_2)
	v_and_b32_e32 v0, 0xffff, v0
	v_and_b32_e32 v2, 0xffff, v1
	s_delay_alu instid0(VALU_DEP_2) | instskip(NEXT) | instid1(VALU_DEP_1)
	v_add_co_u32 v0, s2, s10, v0
	v_add_co_ci_u32_e64 v1, null, s11, 0, s2
	s_delay_alu instid0(VALU_DEP_3) | instskip(NEXT) | instid1(VALU_DEP_1)
	v_add_co_u32 v2, s2, s10, v2
	v_add_co_ci_u32_e64 v3, null, s11, 0, s2
	s_clause 0x1
	global_load_b128 v[56:59], v[0:1], off offset:176
	global_load_b128 v[40:43], v[2:3], off offset:176
	ds_load_2addr_b64 v[0:3], v61 offset0:114 offset1:177
	s_waitcnt vmcnt(1) lgkmcnt(0)
	v_mul_f32_e32 v11, v1, v57
	v_mul_f32_e32 v142, v0, v57
	s_waitcnt vmcnt(0)
	v_mul_f32_e32 v144, v2, v41
	s_delay_alu instid0(VALU_DEP_3) | instskip(SKIP_2) | instid1(VALU_DEP_4)
	v_fma_f32 v141, v0, v56, -v11
	v_mul_f32_e32 v0, v3, v41
	v_fmac_f32_e32 v142, v1, v56
	v_fmac_f32_e32 v144, v3, v40
	s_delay_alu instid0(VALU_DEP_3)
	v_fma_f32 v143, v2, v40, -v0
	ds_load_2addr_b64 v[0:3], v63 offset0:106 offset1:169
	s_waitcnt lgkmcnt(0)
	v_mul_f32_e32 v11, v1, v59
	v_mul_f32_e32 v146, v0, v59
	v_mul_f32_e32 v148, v2, v43
	s_delay_alu instid0(VALU_DEP_3) | instskip(SKIP_1) | instid1(VALU_DEP_4)
	v_fma_f32 v145, v0, v58, -v11
	v_mul_f32_e32 v0, v3, v43
	v_fmac_f32_e32 v146, v1, v58
	s_delay_alu instid0(VALU_DEP_4) | instskip(NEXT) | instid1(VALU_DEP_3)
	v_fmac_f32_e32 v148, v3, v42
	v_fma_f32 v147, v2, v42, -v0
	ds_load_2addr_b64 v[0:3], v249 offset1:63
	s_waitcnt lgkmcnt(0)
	v_dual_add_f32 v11, v1, v8 :: v_dual_add_f32 v8, v8, v10
	s_delay_alu instid0(VALU_DEP_1) | instskip(SKIP_1) | instid1(VALU_DEP_3)
	v_add_f32_e32 v14, v11, v10
	v_add_f32_e32 v10, v0, v7
	v_fma_f32 v1, -0.5, v8, v1
	s_delay_alu instid0(VALU_DEP_2) | instskip(SKIP_1) | instid1(VALU_DEP_3)
	v_add_f32_e32 v13, v10, v9
	v_add_f32_e32 v10, v7, v9
	v_fmamk_f32 v22, v150, 0xbf5db3d7, v1
	v_fmac_f32_e32 v1, 0x3f5db3d7, v150
	s_delay_alu instid0(VALU_DEP_3)
	v_fma_f32 v0, -0.5, v10, v0
	ds_load_2addr_b64 v[5:8], v249 offset0:126 offset1:189
	ds_load_2addr_b64 v[9:12], v71 offset0:124 offset1:187
	;; [unrolled: 1-line block ×3, first 2 shown]
	s_waitcnt lgkmcnt(0)
	s_barrier
	buffer_gl0_inv
	v_fmamk_f32 v21, v149, 0x3f5db3d7, v0
	v_fmac_f32_e32 v0, 0xbf5db3d7, v149
	ds_store_2addr_b64 v152, v[13:14], v[21:22] offset1:24
	v_add_f32_e32 v13, v28, v30
	ds_store_b64 v152, v[0:1] offset:384
	v_add_f32_e32 v0, v3, v28
	v_dual_add_f32 v14, v27, v29 :: v_dual_sub_f32 v21, v28, v30
	v_fmac_f32_e32 v3, -0.5, v13
	v_and_b32_e32 v13, 0xffff, v15
	s_delay_alu instid0(VALU_DEP_4) | instskip(SKIP_2) | instid1(VALU_DEP_4)
	v_dual_add_f32 v1, v0, v30 :: v_dual_add_f32 v0, v2, v27
	v_sub_f32_e32 v22, v27, v29
	v_fma_f32 v2, -0.5, v14, v2
	v_mul_u32_u24_e32 v13, 0x48, v13
	s_delay_alu instid0(VALU_DEP_4) | instskip(NEXT) | instid1(VALU_DEP_4)
	v_add_f32_e32 v0, v0, v29
	v_fmamk_f32 v14, v22, 0xbf5db3d7, v3
	v_fmac_f32_e32 v3, 0x3f5db3d7, v22
	s_delay_alu instid0(VALU_DEP_4)
	v_add_lshl_u32 v15, v13, v23, 3
	v_fmamk_f32 v13, v21, 0x3f5db3d7, v2
	v_fmac_f32_e32 v2, 0xbf5db3d7, v21
	scratch_store_b32 off, v15, off offset:244 ; 4-byte Folded Spill
	ds_store_2addr_b64 v15, v[0:1], v[13:14] offset1:24
	ds_store_b64 v15, v[2:3] offset:384
	v_add_f32_e32 v0, v6, v82
	v_dual_add_f32 v2, v81, v85 :: v_dual_add_f32 v3, v82, v86
	v_dual_sub_f32 v13, v82, v86 :: v_dual_sub_f32 v14, v81, v85
	s_delay_alu instid0(VALU_DEP_3) | instskip(NEXT) | instid1(VALU_DEP_3)
	v_dual_add_f32 v1, v0, v86 :: v_dual_add_f32 v0, v5, v81
	v_fma_f32 v2, -0.5, v2, v5
	v_and_b32_e32 v5, 0xffff, v76
	v_fma_f32 v3, -0.5, v3, v6
	s_delay_alu instid0(VALU_DEP_4) | instskip(NEXT) | instid1(VALU_DEP_3)
	v_add_f32_e32 v0, v0, v85
	v_mul_u32_u24_e32 v5, 0x48, v5
	s_delay_alu instid0(VALU_DEP_3) | instskip(SKIP_1) | instid1(VALU_DEP_3)
	v_fmamk_f32 v6, v14, 0xbf5db3d7, v3
	v_fmac_f32_e32 v3, 0x3f5db3d7, v14
	v_add_lshl_u32 v15, v5, v79, 3
	v_fmamk_f32 v5, v13, 0x3f5db3d7, v2
	v_fmac_f32_e32 v2, 0xbf5db3d7, v13
	ds_store_2addr_b64 v15, v[0:1], v[5:6] offset1:24
	ds_store_b64 v15, v[2:3] offset:384
	v_add_f32_e32 v2, v84, v88
	v_dual_add_f32 v0, v8, v84 :: v_dual_add_f32 v3, v83, v87
	v_dual_sub_f32 v5, v84, v88 :: v_dual_sub_f32 v6, v83, v87
	s_delay_alu instid0(VALU_DEP_3) | instskip(NEXT) | instid1(VALU_DEP_3)
	v_fmac_f32_e32 v8, -0.5, v2
	v_dual_add_f32 v1, v0, v88 :: v_dual_and_b32 v2, 0xffff, v78
	v_add_f32_e32 v0, v7, v83
	v_fma_f32 v7, -0.5, v3, v7
	s_delay_alu instid0(VALU_DEP_4) | instskip(NEXT) | instid1(VALU_DEP_4)
	v_fmamk_f32 v3, v6, 0xbf5db3d7, v8
	v_mul_u32_u24_e32 v2, 0x48, v2
	v_fmac_f32_e32 v8, 0x3f5db3d7, v6
	v_add_f32_e32 v0, v0, v87
	s_delay_alu instid0(VALU_DEP_3)
	v_add_lshl_u32 v13, v2, v80, 3
	v_fmamk_f32 v2, v5, 0x3f5db3d7, v7
	v_fmac_f32_e32 v7, 0xbf5db3d7, v5
	v_mad_u16 v5, 0x48, v90, v93
	ds_store_2addr_b64 v13, v[0:1], v[2:3] offset1:24
	v_add_f32_e32 v0, v10, v128
	v_dual_add_f32 v3, v128, v132 :: v_dual_add_f32 v2, v95, v131
	ds_store_b64 v13, v[7:8] offset:384
	v_sub_f32_e32 v7, v128, v132
	v_dual_add_f32 v1, v0, v132 :: v_dual_add_f32 v0, v9, v95
	v_sub_f32_e32 v8, v95, v131
	v_fma_f32 v2, -0.5, v2, v9
	v_fma_f32 v3, -0.5, v3, v10
	s_delay_alu instid0(VALU_DEP_4) | instskip(NEXT) | instid1(VALU_DEP_1)
	v_dual_add_f32 v0, v0, v131 :: v_dual_and_b32 v5, 0xffff, v5
	v_dual_fmamk_f32 v6, v8, 0xbf5db3d7, v3 :: v_dual_lshlrev_b32 v9, 3, v5
	s_delay_alu instid0(VALU_DEP_4)
	v_fmamk_f32 v5, v7, 0x3f5db3d7, v2
	v_fmac_f32_e32 v2, 0xbf5db3d7, v7
	v_fmac_f32_e32 v3, 0x3f5db3d7, v8
	v_sub_f32_e32 v7, v129, v133
	v_sub_f32_e32 v8, v141, v145
	ds_store_2addr_b64 v9, v[0:1], v[5:6] offset1:24
	v_add_f32_e32 v0, v12, v130
	ds_store_b64 v9, v[2:3] offset:384
	v_mad_u16 v2, 0x48, v92, v94
	v_dual_add_f32 v3, v130, v134 :: v_dual_add_f32 v6, v129, v133
	v_sub_f32_e32 v5, v130, v134
	v_dual_add_f32 v1, v0, v134 :: v_dual_add_f32 v0, v11, v129
	s_delay_alu instid0(VALU_DEP_3) | instskip(NEXT) | instid1(VALU_DEP_4)
	v_fmac_f32_e32 v12, -0.5, v3
	v_fma_f32 v11, -0.5, v6, v11
	v_and_b32_e32 v2, 0xffff, v2
	s_delay_alu instid0(VALU_DEP_3) | instskip(SKIP_1) | instid1(VALU_DEP_3)
	v_dual_add_f32 v0, v0, v133 :: v_dual_fmamk_f32 v3, v7, 0xbf5db3d7, v12
	v_fmac_f32_e32 v12, 0x3f5db3d7, v7
	v_lshlrev_b32_e32 v6, 3, v2
	v_fmamk_f32 v2, v5, 0x3f5db3d7, v11
	v_fmac_f32_e32 v11, 0xbf5db3d7, v5
	v_mad_u16 v5, 0x48, v136, v139
	v_sub_f32_e32 v7, v142, v146
	s_clause 0x2
	scratch_store_b32 off, v152, off offset:228
	scratch_store_b32 off, v9, off offset:220
	;; [unrolled: 1-line block ×3, first 2 shown]
	ds_store_2addr_b64 v6, v[0:1], v[2:3] offset1:24
	v_add_f32_e32 v0, v18, v142
	v_dual_add_f32 v3, v142, v146 :: v_dual_add_f32 v2, v141, v145
	v_and_b32_e32 v5, 0xffff, v5
	ds_store_b64 v6, v[11:12] offset:384
	v_dual_add_f32 v1, v0, v146 :: v_dual_add_f32 v0, v17, v141
	v_fma_f32 v2, -0.5, v2, v17
	v_fma_f32 v3, -0.5, v3, v18
	v_lshlrev_b32_e32 v9, 3, v5
	s_delay_alu instid0(VALU_DEP_3) | instskip(NEXT) | instid1(VALU_DEP_3)
	v_dual_add_f32 v0, v0, v145 :: v_dual_fmamk_f32 v5, v7, 0x3f5db3d7, v2
	v_fmamk_f32 v6, v8, 0xbf5db3d7, v3
	v_fmac_f32_e32 v2, 0xbf5db3d7, v7
	v_fmac_f32_e32 v3, 0x3f5db3d7, v8
	v_sub_f32_e32 v7, v143, v147
	ds_store_2addr_b64 v9, v[0:1], v[5:6] offset1:24
	v_add_f32_e32 v0, v20, v144
	ds_store_b64 v9, v[2:3] offset:384
	v_mad_u16 v2, 0x48, v138, v140
	v_dual_add_f32 v3, v144, v148 :: v_dual_add_f32 v6, v143, v147
	v_sub_f32_e32 v5, v144, v148
	v_dual_add_f32 v1, v0, v148 :: v_dual_add_f32 v0, v19, v143
	s_delay_alu instid0(VALU_DEP_3) | instskip(NEXT) | instid1(VALU_DEP_4)
	v_fmac_f32_e32 v20, -0.5, v3
	v_fma_f32 v19, -0.5, v6, v19
	v_and_b32_e32 v2, 0xffff, v2
	s_delay_alu instid0(VALU_DEP_3) | instskip(SKIP_1) | instid1(VALU_DEP_3)
	v_dual_add_f32 v0, v0, v147 :: v_dual_fmamk_f32 v3, v7, 0xbf5db3d7, v20
	v_fmac_f32_e32 v20, 0x3f5db3d7, v7
	v_lshlrev_b32_e32 v6, 3, v2
	v_fmamk_f32 v2, v5, 0x3f5db3d7, v19
	v_fmac_f32_e32 v19, 0xbf5db3d7, v5
	s_clause 0x3
	scratch_store_b32 off, v15, off offset:232
	scratch_store_b32 off, v13, off offset:224
	scratch_store_b32 off, v9, off offset:212
	scratch_store_b32 off, v6, off offset:208
	ds_store_2addr_b64 v6, v[0:1], v[2:3] offset1:24
	ds_store_b64 v6, v[19:20] offset:384
	s_waitcnt lgkmcnt(0)
	s_waitcnt_vscnt null, 0x0
	s_barrier
	buffer_gl0_inv
	global_load_b128 v[8:11], v151, s[10:11] offset:560
	v_mul_lo_u16 v2, v31, 57
	ds_load_2addr_b64 v[12:15], v73 offset0:120 offset1:183
	v_add_co_u32 v0, s2, v172, -9
	s_delay_alu instid0(VALU_DEP_1) | instskip(SKIP_1) | instid1(VALU_DEP_3)
	v_add_co_ci_u32_e64 v1, null, 0, -1, s2
	v_lshrrev_b16 v90, 12, v2
	v_cndmask_b32_e32 v84, v0, v74, vcc_lo
	scratch_store_b32 off, v151, off offset:204 ; 4-byte Folded Spill
	v_cndmask_b32_e32 v85, v1, v75, vcc_lo
	v_mul_lo_u16 v2, 0x48, v90
	s_delay_alu instid0(VALU_DEP_2) | instskip(NEXT) | instid1(VALU_DEP_2)
	v_lshlrev_b64 v[0:1], 4, v[84:85]
	v_sub_nc_u16 v2, v4, v2
	s_delay_alu instid0(VALU_DEP_2) | instskip(NEXT) | instid1(VALU_DEP_2)
	v_add_co_u32 v0, vcc_lo, s10, v0
	v_and_b32_e32 v92, 0xff, v2
	s_delay_alu instid0(VALU_DEP_4) | instskip(SKIP_4) | instid1(VALU_DEP_2)
	v_add_co_ci_u32_e32 v1, vcc_lo, s11, v1, vcc_lo
	v_cmp_lt_u16_e32 vcc_lo, 8, v60
	s_waitcnt vmcnt(0) lgkmcnt(0)
	v_mul_f32_e32 v2, v13, v9
	v_mul_f32_e32 v79, v12, v9
	v_fma_f32 v78, v12, v8, -v2
	v_lshlrev_b32_e32 v2, 4, v92
	s_clause 0x1
	global_load_b128 v[4:7], v[0:1], off offset:560
	global_load_b128 v[0:3], v2, s[10:11] offset:560
	v_fmac_f32_e32 v79, v13, v8
	ds_load_2addr_b64 v[18:21], v68 offset0:118 offset1:181
	s_waitcnt vmcnt(1)
	v_mul_f32_e32 v12, v15, v5
	v_mul_f32_e32 v94, v14, v5
	s_waitcnt vmcnt(0) lgkmcnt(0)
	v_mul_f32_e32 v139, v18, v1
	s_delay_alu instid0(VALU_DEP_3) | instskip(NEXT) | instid1(VALU_DEP_3)
	v_fma_f32 v93, v14, v4, -v12
	v_fmac_f32_e32 v94, v15, v4
	ds_load_2addr_b64 v[12:15], v70 offset0:112 offset1:175
	v_fmac_f32_e32 v139, v19, v0
	s_waitcnt lgkmcnt(0)
	v_mul_f32_e32 v17, v13, v11
	v_mul_f32_e32 v81, v12, v11
	v_mul_f32_e32 v128, v14, v7
	s_delay_alu instid0(VALU_DEP_3) | instskip(NEXT) | instid1(VALU_DEP_3)
	v_fma_f32 v80, v12, v10, -v17
	v_dual_mul_f32 v12, v15, v7 :: v_dual_fmac_f32 v81, v13, v10
	s_delay_alu instid0(VALU_DEP_2) | instskip(NEXT) | instid1(VALU_DEP_2)
	v_dual_fmac_f32 v128, v15, v6 :: v_dual_sub_f32 v165, v78, v80
	v_fma_f32 v95, v14, v6, -v12
	v_mul_u32_u24_e32 v12, 0xe38f, v89
	v_mul_f32_e32 v14, v19, v1
	v_sub_f32_e32 v164, v79, v81
	s_delay_alu instid0(VALU_DEP_3) | instskip(NEXT) | instid1(VALU_DEP_3)
	v_lshrrev_b32_e32 v89, 22, v12
	v_fma_f32 v138, v18, v0, -v14
	s_delay_alu instid0(VALU_DEP_2) | instskip(NEXT) | instid1(VALU_DEP_1)
	v_mul_lo_u16 v12, 0x48, v89
	v_sub_nc_u16 v129, v16, v12
	v_mul_lo_u16 v12, v77, 57
	v_add_f32_e32 v77, v79, v81
	s_delay_alu instid0(VALU_DEP_3) | instskip(NEXT) | instid1(VALU_DEP_3)
	v_lshlrev_b16 v13, 4, v129
	v_lshrrev_b16 v134, 12, v12
	s_delay_alu instid0(VALU_DEP_2) | instskip(NEXT) | instid1(VALU_DEP_2)
	v_and_b32_e32 v13, 0xffff, v13
	v_mul_lo_u16 v12, 0x48, v134
	s_delay_alu instid0(VALU_DEP_1) | instskip(NEXT) | instid1(VALU_DEP_1)
	v_sub_nc_u16 v12, v176, v12
	v_and_b32_e32 v136, 0xff, v12
	s_delay_alu instid0(VALU_DEP_4) | instskip(NEXT) | instid1(VALU_DEP_1)
	v_add_co_u32 v12, s2, s10, v13
	v_add_co_ci_u32_e64 v13, null, s11, 0, s2
	s_delay_alu instid0(VALU_DEP_3)
	v_lshlrev_b32_e32 v16, 4, v136
	s_clause 0x1
	global_load_b128 v[12:15], v[12:13], off offset:560
	global_load_b128 v[16:19], v16, s[10:11] offset:560
	ds_load_2addr_b64 v[73:76], v69 offset0:116 offset1:179
	s_waitcnt vmcnt(1) lgkmcnt(0)
	v_mul_f32_e32 v149, v73, v13
	s_waitcnt vmcnt(0)
	v_mul_f32_e32 v22, v21, v17
	v_mul_f32_e32 v141, v20, v17
	s_delay_alu instid0(VALU_DEP_3) | instskip(NEXT) | instid1(VALU_DEP_3)
	v_fmac_f32_e32 v149, v74, v12
	v_fma_f32 v140, v20, v16, -v22
	s_delay_alu instid0(VALU_DEP_3)
	v_fmac_f32_e32 v141, v21, v16
	ds_load_2addr_b64 v[20:23], v62 offset0:110 offset1:173
	s_waitcnt lgkmcnt(0)
	v_mul_f32_e32 v27, v21, v3
	v_mul_f32_e32 v143, v20, v3
	;; [unrolled: 1-line block ×3, first 2 shown]
	s_delay_alu instid0(VALU_DEP_3) | instskip(NEXT) | instid1(VALU_DEP_3)
	v_fma_f32 v142, v20, v2, -v27
	v_dual_mul_f32 v20, v23, v19 :: v_dual_fmac_f32 v143, v21, v2
	s_delay_alu instid0(VALU_DEP_3) | instskip(NEXT) | instid1(VALU_DEP_2)
	v_fmac_f32_e32 v145, v23, v18
	v_fma_f32 v144, v22, v18, -v20
	v_mul_u32_u24_e32 v20, 0xe38f, v91
	s_delay_alu instid0(VALU_DEP_1) | instskip(NEXT) | instid1(VALU_DEP_1)
	v_lshrrev_b32_e32 v91, 22, v20
	v_mul_lo_u16 v20, 0x48, v91
	s_delay_alu instid0(VALU_DEP_1) | instskip(SKIP_1) | instid1(VALU_DEP_1)
	v_sub_nc_u16 v146, v26, v20
	v_mul_u32_u24_e32 v20, 0xe38f, v135
	v_lshrrev_b32_e32 v135, 22, v20
	s_delay_alu instid0(VALU_DEP_1) | instskip(NEXT) | instid1(VALU_DEP_1)
	v_mul_lo_u16 v20, 0x48, v135
	v_sub_nc_u16 v147, v25, v20
	v_lshlrev_b16 v20, 4, v146
	v_mul_f32_e32 v25, v74, v13
	s_delay_alu instid0(VALU_DEP_3) | instskip(NEXT) | instid1(VALU_DEP_3)
	v_lshlrev_b16 v21, 4, v147
	v_and_b32_e32 v20, 0xffff, v20
	s_delay_alu instid0(VALU_DEP_3) | instskip(NEXT) | instid1(VALU_DEP_3)
	v_fma_f32 v148, v73, v12, -v25
	v_and_b32_e32 v22, 0xffff, v21
	s_delay_alu instid0(VALU_DEP_3) | instskip(NEXT) | instid1(VALU_DEP_1)
	v_add_co_u32 v20, s2, s10, v20
	v_add_co_ci_u32_e64 v21, null, s11, 0, s2
	s_delay_alu instid0(VALU_DEP_3) | instskip(NEXT) | instid1(VALU_DEP_1)
	v_add_co_u32 v22, s2, s10, v22
	v_add_co_ci_u32_e64 v23, null, s11, 0, s2
	s_clause 0x1
	global_load_b128 v[28:31], v[20:21], off offset:560
	global_load_b128 v[20:23], v[22:23], off offset:560
	s_waitcnt vmcnt(1)
	v_mul_f32_e32 v25, v76, v29
	v_mul_f32_e32 v151, v75, v29
	s_delay_alu instid0(VALU_DEP_2)
	v_fma_f32 v150, v75, v28, -v25
	ds_load_2addr_b64 v[72:75], v72 offset0:108 offset1:171
	v_fmac_f32_e32 v151, v76, v28
	s_waitcnt lgkmcnt(0)
	v_mul_f32_e32 v25, v73, v15
	v_mul_f32_e32 v153, v72, v15
	;; [unrolled: 1-line block ×3, first 2 shown]
	s_delay_alu instid0(VALU_DEP_3) | instskip(SKIP_1) | instid1(VALU_DEP_4)
	v_fma_f32 v152, v72, v14, -v25
	v_mul_f32_e32 v25, v75, v31
	v_fmac_f32_e32 v153, v73, v14
	s_delay_alu instid0(VALU_DEP_4) | instskip(NEXT) | instid1(VALU_DEP_3)
	v_fmac_f32_e32 v155, v75, v30
	v_fma_f32 v154, v74, v30, -v25
	v_mul_u32_u24_e32 v25, 0xe38f, v137
	ds_load_2addr_b64 v[72:75], v61 offset0:114 offset1:177
	v_lshrrev_b32_e32 v25, 22, v25
	s_delay_alu instid0(VALU_DEP_1) | instskip(NEXT) | instid1(VALU_DEP_1)
	v_mul_lo_u16 v25, 0x48, v25
	v_sub_nc_u16 v137, v24, v25
	s_delay_alu instid0(VALU_DEP_1) | instskip(SKIP_2) | instid1(VALU_DEP_2)
	v_lshlrev_b16 v24, 4, v137
	s_waitcnt vmcnt(0) lgkmcnt(0)
	v_mul_f32_e32 v26, v73, v21
	v_dual_mul_f32 v157, v72, v21 :: v_dual_and_b32 v24, 0xffff, v24
	s_delay_alu instid0(VALU_DEP_2) | instskip(NEXT) | instid1(VALU_DEP_2)
	v_fma_f32 v156, v72, v20, -v26
	v_fmac_f32_e32 v157, v73, v20
	s_delay_alu instid0(VALU_DEP_3) | instskip(NEXT) | instid1(VALU_DEP_1)
	v_add_co_u32 v24, s2, s10, v24
	v_add_co_ci_u32_e64 v25, null, s11, 0, s2
	s_load_b64 s[2:3], s[0:1], 0x38
	global_load_b128 v[24:27], v[24:25], off offset:560
	s_waitcnt vmcnt(0)
	v_mul_f32_e32 v72, v75, v25
	v_mul_f32_e32 v159, v74, v25
	s_delay_alu instid0(VALU_DEP_2) | instskip(NEXT) | instid1(VALU_DEP_2)
	v_fma_f32 v158, v74, v24, -v72
	v_fmac_f32_e32 v159, v75, v24
	ds_load_2addr_b64 v[72:75], v63 offset0:106 offset1:169
	s_waitcnt lgkmcnt(0)
	v_mul_f32_e32 v76, v73, v23
	v_mul_f32_e32 v161, v72, v23
	;; [unrolled: 1-line block ×3, first 2 shown]
	s_delay_alu instid0(VALU_DEP_3) | instskip(NEXT) | instid1(VALU_DEP_3)
	v_fma_f32 v160, v72, v22, -v76
	v_dual_mul_f32 v72, v75, v27 :: v_dual_fmac_f32 v161, v73, v22
	s_delay_alu instid0(VALU_DEP_3) | instskip(NEXT) | instid1(VALU_DEP_2)
	v_fmac_f32_e32 v163, v75, v26
	v_fma_f32 v162, v74, v26, -v72
	ds_load_2addr_b64 v[72:75], v249 offset1:63
	s_waitcnt lgkmcnt(0)
	v_add_f32_e32 v76, v73, v79
	v_fma_f32 v73, -0.5, v77, v73
	s_delay_alu instid0(VALU_DEP_2) | instskip(SKIP_1) | instid1(VALU_DEP_3)
	v_add_f32_e32 v86, v76, v81
	v_add_f32_e32 v76, v72, v78
	v_fmamk_f32 v88, v165, 0xbf5db3d7, v73
	v_fmac_f32_e32 v73, 0x3f5db3d7, v165
	s_delay_alu instid0(VALU_DEP_3) | instskip(SKIP_1) | instid1(VALU_DEP_1)
	v_add_f32_e32 v85, v76, v80
	v_add_f32_e32 v76, v78, v80
	v_fma_f32 v72, -0.5, v76, v72
	ds_load_2addr_b64 v[76:79], v71 offset0:124 offset1:187
	ds_load_2addr_b64 v[80:83], v249 offset0:126 offset1:189
	;; [unrolled: 1-line block ×3, first 2 shown]
	v_cndmask_b32_e64 v71, 0, 0xd8, vcc_lo
	s_waitcnt lgkmcnt(0)
	s_waitcnt_vscnt null, 0x0
	s_barrier
	v_fmamk_f32 v87, v164, 0x3f5db3d7, v72
	buffer_gl0_inv
	v_fmac_f32_e32 v72, 0xbf5db3d7, v164
	v_cmp_gt_u16_e32 vcc_lo, 27, v60
	v_and_b32_e32 v60, 0xffff, v137
	ds_store_2addr_b64 v249, v[85:86], v[87:88] offset1:72
	v_add_lshl_u32 v87, v84, v71, 3
	v_dual_add_f32 v71, v75, v94 :: v_dual_add_f32 v84, v94, v128
	v_add_f32_e32 v85, v93, v95
	ds_store_b64 v249, v[72:73] offset:1152
	v_sub_f32_e32 v73, v94, v128
	v_dual_add_f32 v72, v71, v128 :: v_dual_add_f32 v71, v74, v93
	v_sub_f32_e32 v86, v93, v95
	v_fma_f32 v74, -0.5, v85, v74
	v_fmac_f32_e32 v75, -0.5, v84
	s_delay_alu instid0(VALU_DEP_2) | instskip(NEXT) | instid1(VALU_DEP_2)
	v_dual_add_f32 v71, v71, v95 :: v_dual_fmamk_f32 v84, v73, 0x3f5db3d7, v74
	v_dual_fmamk_f32 v85, v86, 0xbf5db3d7, v75 :: v_dual_fmac_f32 v74, 0xbf5db3d7, v73
	v_fmac_f32_e32 v75, 0x3f5db3d7, v86
	v_add_f32_e32 v73, v138, v142
	ds_store_2addr_b64 v87, v[71:72], v[84:85] offset1:72
	v_add_f32_e32 v71, v81, v139
	ds_store_b64 v87, v[74:75] offset:1152
	v_add_f32_e32 v74, v139, v143
	v_fma_f32 v73, -0.5, v73, v80
	v_sub_f32_e32 v75, v139, v143
	v_dual_add_f32 v72, v71, v143 :: v_dual_add_f32 v71, v80, v138
	v_and_b32_e32 v80, 0xffff, v90
	v_sub_f32_e32 v84, v138, v142
	v_fma_f32 v74, -0.5, v74, v81
	s_delay_alu instid0(VALU_DEP_4) | instskip(NEXT) | instid1(VALU_DEP_4)
	v_add_f32_e32 v71, v71, v142
	v_mul_u32_u24_e32 v80, 0xd8, v80
	s_delay_alu instid0(VALU_DEP_3) | instskip(SKIP_1) | instid1(VALU_DEP_3)
	v_fmamk_f32 v81, v84, 0xbf5db3d7, v74
	v_fmac_f32_e32 v74, 0x3f5db3d7, v84
	v_add_lshl_u32 v85, v80, v92, 3
	v_fmamk_f32 v80, v75, 0x3f5db3d7, v73
	v_fmac_f32_e32 v73, 0xbf5db3d7, v75
	v_sub_f32_e32 v75, v141, v145
	ds_store_2addr_b64 v85, v[71:72], v[80:81] offset1:72
	ds_store_b64 v85, v[73:74] offset:1152
	v_add_f32_e32 v73, v141, v145
	v_dual_add_f32 v71, v83, v141 :: v_dual_add_f32 v74, v140, v144
	s_delay_alu instid0(VALU_DEP_2) | instskip(NEXT) | instid1(VALU_DEP_2)
	v_dual_sub_f32 v80, v140, v144 :: v_dual_fmac_f32 v83, -0.5, v73
	v_dual_add_f32 v72, v71, v145 :: v_dual_and_b32 v73, 0xffff, v134
	v_add_f32_e32 v71, v82, v140
	s_delay_alu instid0(VALU_DEP_4) | instskip(NEXT) | instid1(VALU_DEP_4)
	v_fma_f32 v82, -0.5, v74, v82
	v_fmamk_f32 v74, v80, 0xbf5db3d7, v83
	s_delay_alu instid0(VALU_DEP_4) | instskip(SKIP_2) | instid1(VALU_DEP_3)
	v_mul_u32_u24_e32 v73, 0xd8, v73
	v_fmac_f32_e32 v83, 0x3f5db3d7, v80
	v_dual_add_f32 v71, v71, v144 :: v_dual_sub_f32 v80, v149, v153
	v_add_lshl_u32 v81, v73, v136, 3
	v_fmamk_f32 v73, v75, 0x3f5db3d7, v82
	v_fmac_f32_e32 v82, 0xbf5db3d7, v75
	v_mad_u16 v75, 0xd8, v89, v129
	scratch_store_b32 off, v81, off offset:260 ; 4-byte Folded Spill
	ds_store_2addr_b64 v81, v[71:72], v[73:74] offset1:72
	v_dual_add_f32 v74, v149, v153 :: v_dual_add_f32 v73, v148, v152
	ds_store_b64 v81, v[82:83] offset:1152
	v_add_f32_e32 v71, v77, v149
	v_sub_f32_e32 v81, v148, v152
	v_fma_f32 v74, -0.5, v74, v77
	v_fma_f32 v73, -0.5, v73, v76
	s_delay_alu instid0(VALU_DEP_4) | instskip(NEXT) | instid1(VALU_DEP_3)
	v_dual_add_f32 v72, v71, v153 :: v_dual_and_b32 v75, 0xffff, v75
	v_dual_add_f32 v71, v76, v148 :: v_dual_fmamk_f32 v76, v81, 0xbf5db3d7, v74
	s_delay_alu instid0(VALU_DEP_2) | instskip(NEXT) | instid1(VALU_DEP_4)
	v_dual_fmac_f32 v74, 0x3f5db3d7, v81 :: v_dual_lshlrev_b32 v77, 3, v75
	v_fmamk_f32 v75, v80, 0x3f5db3d7, v73
	v_fmac_f32_e32 v73, 0xbf5db3d7, v80
	s_delay_alu instid0(VALU_DEP_4)
	v_add_f32_e32 v71, v71, v152
	ds_store_b64 v77, v[73:74] offset:1152
	v_mad_u16 v73, 0xd8, v91, v146
	ds_store_2addr_b64 v77, v[71:72], v[75:76] offset1:72
	v_add_f32_e32 v71, v79, v151
	v_add_f32_e32 v74, v151, v155
	v_dual_add_f32 v76, v150, v154 :: v_dual_and_b32 v73, 0xffff, v73
	v_sub_f32_e32 v75, v151, v155
	s_delay_alu instid0(VALU_DEP_4) | instskip(NEXT) | instid1(VALU_DEP_3)
	v_dual_add_f32 v72, v71, v155 :: v_dual_add_f32 v71, v78, v150
	v_fma_f32 v78, -0.5, v76, v78
	s_delay_alu instid0(VALU_DEP_4)
	v_dual_fmac_f32 v79, -0.5, v74 :: v_dual_lshlrev_b32 v76, 3, v73
	scratch_store_b32 off, v77, off offset:236 ; 4-byte Folded Spill
	v_sub_f32_e32 v77, v150, v154
	v_add_f32_e32 v71, v71, v154
	v_fmamk_f32 v73, v75, 0x3f5db3d7, v78
	v_fmac_f32_e32 v78, 0xbf5db3d7, v75
	v_mad_u16 v75, 0xd8, v135, v147
	v_fmamk_f32 v74, v77, 0xbf5db3d7, v79
	v_fmac_f32_e32 v79, 0x3f5db3d7, v77
	v_sub_f32_e32 v77, v157, v161
                                        ; implicit-def: $vgpr146
                                        ; implicit-def: $vgpr154
	s_delay_alu instid0(VALU_DEP_4)
	v_and_b32_e32 v75, 0xffff, v75
	ds_store_2addr_b64 v76, v[71:72], v[73:74] offset1:72
	v_add_f32_e32 v71, v131, v157
	v_dual_add_f32 v74, v157, v161 :: v_dual_add_f32 v73, v156, v160
	ds_store_b64 v76, v[78:79] offset:1152
	v_sub_f32_e32 v78, v156, v160
	v_dual_add_f32 v72, v71, v161 :: v_dual_add_f32 v71, v130, v156
	v_fma_f32 v73, -0.5, v73, v130
	v_fma_f32 v74, -0.5, v74, v131
	v_lshlrev_b32_e32 v79, 3, v75
	scratch_store_b32 off, v76, off offset:240 ; 4-byte Folded Spill
	v_add_f32_e32 v71, v71, v160
	v_fmamk_f32 v75, v77, 0x3f5db3d7, v73
	v_fmamk_f32 v76, v78, 0xbf5db3d7, v74
	scratch_store_b32 off, v79, off offset:248 ; 4-byte Folded Spill
	v_fmac_f32_e32 v73, 0xbf5db3d7, v77
	v_fmac_f32_e32 v74, 0x3f5db3d7, v78
	scratch_store_b32 off, v87, off offset:252 ; 4-byte Folded Spill
	ds_store_2addr_b64 v79, v[71:72], v[75:76] offset1:72
	v_add_f32_e32 v72, v133, v159
	v_sub_f32_e32 v71, v159, v163
	ds_store_b64 v79, v[73:74] offset:1152
	v_dual_add_f32 v73, v159, v163 :: v_dual_add_f32 v74, v132, v158
	v_dual_add_f32 v141, v72, v163 :: v_dual_add_f32 v72, v158, v162
	s_delay_alu instid0(VALU_DEP_2) | instskip(NEXT) | instid1(VALU_DEP_2)
	v_dual_fmac_f32 v133, -0.5, v73 :: v_dual_add_f32 v140, v74, v162
	v_fma_f32 v132, -0.5, v72, v132
	v_sub_f32_e32 v72, v158, v162
	s_delay_alu instid0(VALU_DEP_2)
	v_fmamk_f32 v142, v71, 0x3f5db3d7, v132
	v_dual_fmac_f32 v132, 0xbf5db3d7, v71 :: v_dual_lshlrev_b32 v71, 3, v60
	scratch_store_b32 off, v85, off offset:256 ; 4-byte Folded Spill
	v_fmamk_f32 v143, v72, 0xbf5db3d7, v133
	v_fmac_f32_e32 v133, 0x3f5db3d7, v72
	scratch_store_b32 off, v71, off offset:264 ; 4-byte Folded Spill
	v_add_nc_u32_e32 v60, 0x2800, v71
	ds_store_b64 v71, v[132:133] offset:11520
	ds_store_2addr_b64 v60, v[140:141], v[142:143] offset0:16 offset1:88
	s_waitcnt lgkmcnt(0)
	s_waitcnt_vscnt null, 0x0
	s_barrier
	buffer_gl0_inv
	ds_load_b64 v[138:139], v249 offset:11376
	ds_load_2addr_b64 v[164:167], v68 offset0:46 offset1:136
	ds_load_2addr_b64 v[84:87], v61 offset0:96 offset1:159
	;; [unrolled: 1-line block ×5, first 2 shown]
	ds_load_2addr_b64 v[156:159], v249 offset1:63
	ds_load_2addr_b64 v[134:137], v249 offset0:126 offset1:216
	ds_load_2addr_b64 v[76:79], v168 offset0:176 offset1:239
	;; [unrolled: 1-line block ×4, first 2 shown]
	s_and_saveexec_b32 s0, vcc_lo
	s_cbranch_execz .LBB0_3
; %bb.2:
	v_add_nc_u32_e32 v60, 0x1300, v249
	ds_load_2addr_b64 v[144:147], v60 offset0:13 offset1:229
	v_add_nc_u32_e32 v60, 0x500, v249
	ds_load_2addr_b64 v[152:155], v62 offset0:29 offset1:245
	ds_load_b64 v[247:248], v249 offset:11880
	ds_load_2addr_b64 v[140:143], v60 offset0:29 offset1:245
	s_waitcnt lgkmcnt(3)
	v_dual_mov_b32 v133, v145 :: v_dual_mov_b32 v132, v144
.LBB0_3:
	s_or_b32 exec_lo, exec_lo, s0
	v_mad_u64_u32 v[144:145], null, v172, 48, s[10:11]
	s_clause 0x1
	global_load_b128 v[88:91], v[144:145], off offset:1712
	global_load_b128 v[80:83], v[144:145], off offset:1728
	v_add_co_u32 v187, s0, 0x1000, v144
	s_delay_alu instid0(VALU_DEP_1) | instskip(SKIP_1) | instid1(VALU_DEP_1)
	v_add_co_ci_u32_e64 v188, s0, 0, v145, s0
	v_add_co_u32 v92, s0, 0x1280, v144
	v_add_co_ci_u32_e64 v93, s0, 0, v145, s0
	s_waitcnt vmcnt(1) lgkmcnt(2)
	v_mul_f32_e32 v60, v77, v91
	v_mul_f32_e32 v186, v76, v91
	s_waitcnt vmcnt(0)
	v_mul_f32_e32 v190, v84, v83
	v_mul_f32_e32 v194, v166, v81
	v_fma_f32 v185, v76, v90, -v60
	s_clause 0x1
	global_load_b128 v[68:71], v[187:188], off offset:640
	global_load_b128 v[60:63], v[92:93], off offset:32
	v_fmac_f32_e32 v186, v77, v90
	v_fmac_f32_e32 v190, v85, v82
	;; [unrolled: 1-line block ×3, first 2 shown]
	s_waitcnt vmcnt(1)
	v_mul_f32_e32 v76, v79, v71
	s_waitcnt vmcnt(0) lgkmcnt(0)
	v_dual_mul_f32 v178, v78, v71 :: v_dual_mul_f32 v199, v160, v61
	s_delay_alu instid0(VALU_DEP_2) | instskip(SKIP_1) | instid1(VALU_DEP_3)
	v_fma_f32 v177, v78, v70, -v76
	v_mul_f32_e32 v76, v85, v83
	v_fmac_f32_e32 v178, v79, v70
	s_delay_alu instid0(VALU_DEP_4) | instskip(SKIP_1) | instid1(VALU_DEP_4)
	v_dual_mul_f32 v182, v74, v63 :: v_dual_fmac_f32 v199, v161, v60
	v_mul_f32_e32 v184, v168, v69
	v_fma_f32 v189, v84, v82, -v76
	s_clause 0x1
	global_load_b128 v[76:79], v[92:93], off offset:16
	global_load_b128 v[92:95], v[144:145], off offset:1744
	v_add_co_u32 v144, s0, 0x1e50, v144
	s_delay_alu instid0(VALU_DEP_1)
	v_add_co_ci_u32_e64 v145, s0, 0, v145, s0
	v_fmac_f32_e32 v182, v75, v62
	v_fmac_f32_e32 v184, v169, v68
	s_waitcnt vmcnt(1)
	v_mul_f32_e32 v84, v87, v79
	s_waitcnt vmcnt(0)
	v_mul_f32_e32 v192, v72, v95
	v_mul_f32_e32 v180, v86, v79
	;; [unrolled: 1-line block ×3, first 2 shown]
	v_fma_f32 v179, v86, v78, -v84
	v_mul_f32_e32 v84, v73, v95
	s_delay_alu instid0(VALU_DEP_4) | instskip(NEXT) | instid1(VALU_DEP_4)
	v_fmac_f32_e32 v180, v87, v78
	v_fmac_f32_e32 v196, v131, v92
	;; [unrolled: 1-line block ×3, first 2 shown]
	s_delay_alu instid0(VALU_DEP_4) | instskip(SKIP_1) | instid1(VALU_DEP_1)
	v_fma_f32 v191, v72, v94, -v84
	v_mul_f32_e32 v72, v75, v63
	v_fma_f32 v181, v74, v62, -v72
	v_mul_f32_e32 v72, v169, v69
	s_delay_alu instid0(VALU_DEP_1)
	v_fma_f32 v183, v168, v68, -v72
	s_clause 0x1
	global_load_b128 v[84:87], v[187:188], off offset:3664
	global_load_b128 v[72:75], v[144:145], off offset:16
	v_mul_f32_e32 v188, v148, v77
	scratch_store_b32 off, v172, off offset:8 ; 4-byte Folded Spill
	v_add_f32_e32 v208, v183, v181
	v_fmac_f32_e32 v188, v149, v76
	s_waitcnt vmcnt(1)
	v_mul_f32_e32 v168, v171, v85
	v_mul_f32_e32 v169, v170, v85
	s_delay_alu instid0(VALU_DEP_2)
	v_fma_f32 v168, v170, v84, -v168
	v_mul_f32_e32 v170, v167, v81
	s_waitcnt vmcnt(0)
	v_mul_f32_e32 v167, v150, v73
	v_add_f32_e32 v205, v186, v196
	v_fmac_f32_e32 v169, v171, v84
	v_mul_f32_e32 v171, v128, v75
	v_fma_f32 v193, v166, v80, -v170
	v_dual_mul_f32 v166, v165, v87 :: v_dual_fmac_f32 v167, v151, v72
	v_add_f32_e32 v213, v178, v199
	s_delay_alu instid0(VALU_DEP_4) | instskip(NEXT) | instid1(VALU_DEP_4)
	v_fmac_f32_e32 v171, v129, v74
	v_add_f32_e32 v202, v193, v189
	s_delay_alu instid0(VALU_DEP_4) | instskip(SKIP_1) | instid1(VALU_DEP_4)
	v_fma_f32 v166, v164, v86, -v166
	v_mul_f32_e32 v164, v164, v87
	v_add_f32_e32 v220, v167, v171
	s_delay_alu instid0(VALU_DEP_2) | instskip(SKIP_1) | instid1(VALU_DEP_1)
	v_fmac_f32_e32 v164, v165, v86
	v_mul_f32_e32 v165, v149, v77
	v_fma_f32 v187, v148, v76, -v165
	v_mul_f32_e32 v148, v151, v73
	s_delay_alu instid0(VALU_DEP_2) | instskip(NEXT) | instid1(VALU_DEP_2)
	v_add_f32_e32 v210, v187, v179
	v_fma_f32 v165, v150, v72, -v148
	v_mul_f32_e32 v148, v131, v93
	s_delay_alu instid0(VALU_DEP_1) | instskip(SKIP_1) | instid1(VALU_DEP_1)
	v_fma_f32 v195, v130, v92, -v148
	v_mul_f32_e32 v130, v129, v75
	v_fma_f32 v170, v128, v74, -v130
	v_subrev_nc_u32_e32 v128, 27, v172
	s_delay_alu instid0(VALU_DEP_1) | instskip(NEXT) | instid1(VALU_DEP_1)
	v_cndmask_b32_e32 v128, v128, v176, vcc_lo
	v_mul_i32_i24_e32 v129, 48, v128
	v_mul_hi_i32_i24_e32 v128, 48, v128
	s_delay_alu instid0(VALU_DEP_2) | instskip(NEXT) | instid1(VALU_DEP_1)
	v_add_co_u32 v197, s0, s10, v129
	v_add_co_ci_u32_e64 v198, s0, s11, v128, s0
	v_mul_f32_e32 v128, v161, v61
	v_mul_f32_e32 v161, v136, v89
	s_delay_alu instid0(VALU_DEP_2)
	v_fma_f32 v176, v160, v60, -v128
	s_clause 0x1
	global_load_b128 v[148:151], v[144:145], off offset:32
	global_load_b128 v[128:131], v[197:198], off offset:1712
	v_fmac_f32_e32 v161, v137, v88
	v_add_f32_e32 v209, v177, v176
	s_delay_alu instid0(VALU_DEP_2)
	v_add_f32_e32 v204, v161, v192
	v_sub_f32_e32 v161, v161, v192
	v_add_f32_e32 v214, v188, v180
	s_waitcnt vmcnt(1)
	v_mul_f32_e32 v144, v163, v149
	v_mul_f32_e32 v201, v162, v149
	;; [unrolled: 1-line block ×3, first 2 shown]
	v_add_f32_e32 v206, v194, v190
	s_delay_alu instid0(VALU_DEP_4) | instskip(NEXT) | instid1(VALU_DEP_4)
	v_fma_f32 v200, v162, v148, -v144
	v_dual_mul_f32 v144, v137, v89 :: v_dual_fmac_f32 v201, v163, v148
	v_dual_add_f32 v163, v185, v195 :: v_dual_add_f32 v212, v184, v182
	v_fmac_f32_e32 v217, v139, v150
	s_delay_alu instid0(VALU_DEP_3) | instskip(NEXT) | instid1(VALU_DEP_4)
	v_fma_f32 v160, v136, v88, -v144
	v_dual_add_f32 v219, v166, v200 :: v_dual_add_f32 v252, v164, v201
	s_delay_alu instid0(VALU_DEP_2) | instskip(SKIP_1) | instid1(VALU_DEP_2)
	v_dual_add_f32 v253, v169, v217 :: v_dual_add_f32 v162, v160, v191
	v_sub_f32_e32 v160, v160, v191
	v_add_f32_e32 v136, v163, v162
	s_delay_alu instid0(VALU_DEP_1) | instskip(SKIP_1) | instid1(VALU_DEP_1)
	v_add_f32_e32 v203, v202, v136
	v_add_f32_e32 v136, v205, v204
	;; [unrolled: 1-line block ×4, first 2 shown]
	s_delay_alu instid0(VALU_DEP_2) | instskip(NEXT) | instid1(VALU_DEP_2)
	v_add_f32_e32 v137, v157, v207
	v_add_f32_e32 v211, v210, v136
	;; [unrolled: 1-line block ×3, first 2 shown]
	s_delay_alu instid0(VALU_DEP_2) | instskip(NEXT) | instid1(VALU_DEP_2)
	v_add_f32_e32 v144, v158, v211
	v_dual_add_f32 v215, v214, v136 :: v_dual_add_f32 v136, v156, v203
	v_mul_f32_e32 v156, v139, v151
	v_sub_f32_e32 v158, v189, v193
	v_sub_f32_e32 v189, v206, v205
	s_delay_alu instid0(VALU_DEP_4) | instskip(NEXT) | instid1(VALU_DEP_4)
	v_dual_sub_f32 v139, v186, v196 :: v_dual_fmamk_f32 v196, v203, 0xbf955555, v136
	v_fma_f32 v216, v138, v150, -v156
	v_dual_add_f32 v250, v165, v170 :: v_dual_add_f32 v145, v159, v215
	s_delay_alu instid0(VALU_DEP_3) | instskip(NEXT) | instid1(VALU_DEP_3)
	v_dual_sub_f32 v159, v190, v194 :: v_dual_sub_f32 v192, v139, v161
	v_dual_add_f32 v218, v168, v216 :: v_dual_fmamk_f32 v203, v207, 0xbf955555, v137
	s_delay_alu instid0(VALU_DEP_2) | instskip(NEXT) | instid1(VALU_DEP_1)
	v_sub_f32_e32 v191, v159, v139
	v_dual_add_f32 v138, v219, v218 :: v_dual_mul_f32 v191, 0xbf08b237, v191
	s_delay_alu instid0(VALU_DEP_1) | instskip(NEXT) | instid1(VALU_DEP_1)
	v_dual_add_f32 v251, v250, v138 :: v_dual_add_f32 v138, v252, v253
	v_add_f32_e32 v134, v134, v251
	s_delay_alu instid0(VALU_DEP_2) | instskip(SKIP_1) | instid1(VALU_DEP_1)
	v_add_f32_e32 v172, v220, v138
	v_sub_f32_e32 v138, v185, v195
	v_sub_f32_e32 v157, v158, v138
	v_add_f32_e32 v156, v158, v138
	v_sub_f32_e32 v190, v138, v160
	v_dual_add_f32 v138, v159, v139 :: v_dual_mul_f32 v139, 0x3d64c772, v189
	s_delay_alu instid0(VALU_DEP_4) | instskip(NEXT) | instid1(VALU_DEP_4)
	v_mul_f32_e32 v195, 0xbf08b237, v157
	v_add_f32_e32 v193, v156, v160
	v_sub_f32_e32 v185, v163, v162
	v_sub_f32_e32 v163, v202, v163
	v_add_f32_e32 v194, v138, v161
	v_fma_f32 v157, 0x3f5ff5aa, v190, -v195
	v_fma_f32 v156, 0x3f5ff5aa, v192, -v191
	s_delay_alu instid0(VALU_DEP_2) | instskip(SKIP_1) | instid1(VALU_DEP_3)
	v_dual_sub_f32 v162, v162, v202 :: v_dual_fmac_f32 v157, 0x3ee1c552, v193
	v_sub_f32_e32 v186, v205, v204
	v_fmac_f32_e32 v156, 0x3ee1c552, v194
	s_delay_alu instid0(VALU_DEP_3) | instskip(NEXT) | instid1(VALU_DEP_3)
	v_mul_f32_e32 v162, 0x3f4a47b2, v162
	v_fma_f32 v139, 0x3f3bfb3b, v186, -v139
	s_delay_alu instid0(VALU_DEP_1) | instskip(SKIP_1) | instid1(VALU_DEP_2)
	v_dual_add_f32 v207, v139, v203 :: v_dual_sub_f32 v202, v204, v206
	v_sub_f32_e32 v204, v160, v158
	v_dual_mul_f32 v158, 0x3f5ff5aa, v190 :: v_dual_add_f32 v139, v157, v207
	v_mul_f32_e32 v138, 0x3d64c772, v163
	s_delay_alu instid0(VALU_DEP_4) | instskip(NEXT) | instid1(VALU_DEP_2)
	v_dual_mul_f32 v190, 0x3f4a47b2, v202 :: v_dual_sub_f32 v157, v207, v157
	v_fma_f32 v138, 0x3f3bfb3b, v185, -v138
	s_delay_alu instid0(VALU_DEP_1) | instskip(NEXT) | instid1(VALU_DEP_1)
	v_add_f32_e32 v205, v138, v196
	v_sub_f32_e32 v138, v205, v156
	v_dual_add_f32 v156, v156, v205 :: v_dual_sub_f32 v205, v161, v159
	v_mul_f32_e32 v159, 0x3f5ff5aa, v192
	v_fma_f32 v161, 0xbeae86e6, v204, -v158
	v_fma_f32 v158, 0xbf3bfb3b, v185, -v162
	v_fmamk_f32 v162, v163, 0x3d64c772, v162
	v_fmamk_f32 v163, v189, 0x3d64c772, v190
	v_fma_f32 v160, 0xbeae86e6, v205, -v159
	v_fma_f32 v159, 0xbf3bfb3b, v186, -v190
	v_fmac_f32_e32 v161, 0x3ee1c552, v193
	v_add_f32_e32 v185, v158, v196
	s_delay_alu instid0(VALU_DEP_4) | instskip(NEXT) | instid1(VALU_DEP_4)
	v_dual_add_f32 v189, v162, v196 :: v_dual_fmac_f32 v160, 0x3ee1c552, v194
	v_add_f32_e32 v186, v159, v203
	v_add_f32_e32 v190, v163, v203
	s_delay_alu instid0(VALU_DEP_3) | instskip(NEXT) | instid1(VALU_DEP_3)
	v_add_f32_e32 v158, v160, v185
	v_dual_sub_f32 v159, v186, v161 :: v_dual_sub_f32 v160, v185, v160
	v_dual_add_f32 v161, v161, v186 :: v_dual_fmamk_f32 v186, v204, 0x3eae86e6, v195
	v_fmamk_f32 v185, v205, 0x3eae86e6, v191
	s_delay_alu instid0(VALU_DEP_1) | instskip(NEXT) | instid1(VALU_DEP_1)
	v_dual_fmac_f32 v186, 0x3ee1c552, v193 :: v_dual_fmac_f32 v185, 0x3ee1c552, v194
	v_dual_sub_f32 v163, v190, v186 :: v_dual_add_f32 v162, v185, v189
	v_dual_sub_f32 v185, v189, v185 :: v_dual_add_f32 v186, v186, v190
	ds_store_b64 v249, v[162:163] offset:1728
	ds_store_b64 v249, v[158:159] offset:3456
	;; [unrolled: 1-line block ×6, first 2 shown]
	ds_store_2addr_b64 v249, v[136:137], v[144:145] offset1:63
	v_fmamk_f32 v158, v211, 0xbf955555, v144
	v_dual_sub_f32 v144, v183, v181 :: v_dual_sub_f32 v137, v178, v199
	v_add_f32_e32 v135, v135, v172
	v_sub_f32_e32 v136, v177, v176
	v_dual_sub_f32 v156, v179, v187 :: v_dual_sub_f32 v157, v180, v188
	v_fmamk_f32 v159, v215, 0xbf955555, v145
	v_sub_f32_e32 v145, v184, v182
	s_delay_alu instid0(VALU_DEP_3)
	v_dual_sub_f32 v161, v210, v209 :: v_dual_add_f32 v138, v156, v136
	v_sub_f32_e32 v139, v156, v136
	v_sub_f32_e32 v176, v136, v144
	v_add_f32_e32 v136, v157, v137
	v_sub_f32_e32 v177, v157, v137
	v_dual_sub_f32 v160, v209, v208 :: v_dual_sub_f32 v163, v214, v213
	v_sub_f32_e32 v178, v137, v145
	s_delay_alu instid0(VALU_DEP_4) | instskip(NEXT) | instid1(VALU_DEP_4)
	v_add_f32_e32 v180, v136, v145
	v_mul_f32_e32 v177, 0xbf08b237, v177
	v_mul_f32_e32 v136, 0x3d64c772, v161
	v_sub_f32_e32 v162, v213, v212
	v_add_f32_e32 v179, v138, v144
	v_mul_f32_e32 v181, 0xbf08b237, v139
	v_mul_f32_e32 v137, 0x3d64c772, v163
	v_fma_f32 v136, 0x3f3bfb3b, v160, -v136
	v_fma_f32 v138, 0x3f5ff5aa, v178, -v177
	v_sub_f32_e32 v185, v145, v157
	v_fma_f32 v139, 0x3f5ff5aa, v176, -v181
	v_fma_f32 v137, 0x3f3bfb3b, v162, -v137
	v_add_f32_e32 v182, v136, v158
	v_fmac_f32_e32 v138, 0x3ee1c552, v180
	s_delay_alu instid0(VALU_DEP_4) | instskip(NEXT) | instid1(VALU_DEP_4)
	v_dual_sub_f32 v184, v144, v156 :: v_dual_fmac_f32 v139, 0x3ee1c552, v179
	v_add_f32_e32 v183, v137, v159
	v_fmamk_f32 v156, v185, 0x3eae86e6, v177
	s_delay_alu instid0(VALU_DEP_4) | instskip(SKIP_1) | instid1(VALU_DEP_4)
	v_sub_f32_e32 v136, v182, v138
	v_add_f32_e32 v138, v138, v182
	v_dual_sub_f32 v182, v208, v210 :: v_dual_add_f32 v137, v139, v183
	v_sub_f32_e32 v139, v183, v139
	v_sub_f32_e32 v183, v212, v214
	v_fmamk_f32 v157, v184, 0x3eae86e6, v181
	s_delay_alu instid0(VALU_DEP_4) | instskip(SKIP_1) | instid1(VALU_DEP_4)
	v_mul_f32_e32 v182, 0x3f4a47b2, v182
	v_fmac_f32_e32 v156, 0x3ee1c552, v180
	v_mul_f32_e32 v183, 0x3f4a47b2, v183
	s_delay_alu instid0(VALU_DEP_4) | instskip(NEXT) | instid1(VALU_DEP_4)
	v_fmac_f32_e32 v157, 0x3ee1c552, v179
	v_fmamk_f32 v144, v161, 0x3d64c772, v182
	v_fma_f32 v160, 0xbf3bfb3b, v160, -v182
	s_delay_alu instid0(VALU_DEP_4) | instskip(SKIP_1) | instid1(VALU_DEP_4)
	v_fmamk_f32 v145, v163, 0x3d64c772, v183
	v_fma_f32 v162, 0xbf3bfb3b, v162, -v183
	v_add_f32_e32 v161, v144, v158
	s_delay_alu instid0(VALU_DEP_3) | instskip(NEXT) | instid1(VALU_DEP_3)
	v_add_f32_e32 v163, v145, v159
	v_add_f32_e32 v162, v162, v159
	s_delay_alu instid0(VALU_DEP_3)
	v_add_f32_e32 v144, v156, v161
	v_sub_f32_e32 v156, v161, v156
	v_mul_f32_e32 v161, 0x3f5ff5aa, v176
	v_sub_f32_e32 v145, v163, v157
	v_add_f32_e32 v157, v157, v163
	v_mul_f32_e32 v163, 0x3f5ff5aa, v178
	s_delay_alu instid0(VALU_DEP_4) | instskip(NEXT) | instid1(VALU_DEP_2)
	v_fma_f32 v161, 0xbeae86e6, v184, -v161
	v_fma_f32 v163, 0xbeae86e6, v185, -v163
	s_delay_alu instid0(VALU_DEP_2) | instskip(NEXT) | instid1(VALU_DEP_2)
	v_fmac_f32_e32 v161, 0x3ee1c552, v179
	v_fmac_f32_e32 v163, 0x3ee1c552, v180
	s_delay_alu instid0(VALU_DEP_2) | instskip(SKIP_2) | instid1(VALU_DEP_2)
	v_add_f32_e32 v159, v161, v162
	v_dual_sub_f32 v161, v162, v161 :: v_dual_add_f32 v160, v160, v158
	v_fmamk_f32 v162, v251, 0xbf955555, v134
	v_sub_f32_e32 v158, v160, v163
	v_dual_add_f32 v160, v163, v160 :: v_dual_fmamk_f32 v163, v172, 0xbf955555, v135
	ds_store_b64 v249, v[134:135] offset:1008
	ds_store_b64 v249, v[138:139] offset:7416
	;; [unrolled: 1-line block ×6, first 2 shown]
	v_sub_f32_e32 v158, v166, v200
	v_sub_f32_e32 v134, v170, v165
	;; [unrolled: 1-line block ×4, first 2 shown]
	v_dual_sub_f32 v135, v171, v167 :: v_dual_sub_f32 v136, v218, v250
	s_delay_alu instid0(VALU_DEP_4) | instskip(SKIP_2) | instid1(VALU_DEP_3)
	v_sub_f32_e32 v139, v134, v158
	v_add_f32_e32 v138, v134, v158
	v_dual_sub_f32 v164, v156, v134 :: v_dual_sub_f32 v157, v169, v217
	v_dual_sub_f32 v137, v253, v220 :: v_dual_mul_f32 v168, 0xbf08b237, v139
	s_delay_alu instid0(VALU_DEP_3) | instskip(SKIP_1) | instid1(VALU_DEP_3)
	v_dual_add_f32 v167, v138, v156 :: v_dual_add_f32 v134, v135, v159
	v_dual_sub_f32 v165, v135, v159 :: v_dual_mul_f32 v170, 0x3f4a47b2, v136
	v_fmamk_f32 v172, v164, 0x3eae86e6, v168
	v_dual_sub_f32 v161, v220, v252 :: v_dual_sub_f32 v166, v157, v135
	s_delay_alu instid0(VALU_DEP_4) | instskip(SKIP_1) | instid1(VALU_DEP_4)
	v_add_f32_e32 v169, v134, v157
	v_mul_f32_e32 v171, 0x3f4a47b2, v137
	v_fmac_f32_e32 v172, 0x3ee1c552, v167
	v_dual_sub_f32 v160, v250, v219 :: v_dual_mul_f32 v165, 0xbf08b237, v165
	v_add_nc_u32_e32 v136, 0x800, v249
	s_delay_alu instid0(VALU_DEP_2) | instskip(NEXT) | instid1(VALU_DEP_3)
	v_dual_sub_f32 v157, v159, v157 :: v_dual_fmamk_f32 v134, v160, 0x3d64c772, v170
	v_fmamk_f32 v176, v166, 0x3eae86e6, v165
	s_delay_alu instid0(VALU_DEP_2) | instskip(NEXT) | instid1(VALU_DEP_2)
	v_dual_add_f32 v177, v134, v162 :: v_dual_fmamk_f32 v134, v161, 0x3d64c772, v171
	v_fmac_f32_e32 v176, 0x3ee1c552, v169
	s_delay_alu instid0(VALU_DEP_2) | instskip(NEXT) | instid1(VALU_DEP_1)
	v_add_f32_e32 v178, v134, v163
	v_dual_add_f32 v134, v176, v177 :: v_dual_sub_f32 v135, v178, v172
	ds_store_2addr_b64 v136, v[144:145], v[134:135] offset0:23 offset1:86
	s_waitcnt vmcnt(0)
	v_mul_f32_e32 v134, v133, v131
	v_mul_f32_e32 v145, v132, v131
	s_delay_alu instid0(VALU_DEP_2) | instskip(NEXT) | instid1(VALU_DEP_2)
	v_fma_f32 v144, v132, v130, -v134
	v_fmac_f32_e32 v145, v133, v130
	s_clause 0x1
	global_load_b128 v[132:135], v[197:198], off offset:1728
	global_load_b128 v[136:139], v[197:198], off offset:1744
	s_waitcnt vmcnt(1)
	v_mul_f32_e32 v179, v147, v133
	v_mul_f32_e32 v180, v146, v133
	s_waitcnt vmcnt(0)
	v_mul_f32_e32 v184, v154, v137
	v_mul_f32_e32 v186, v247, v139
	;; [unrolled: 1-line block ×3, first 2 shown]
	v_fma_f32 v179, v146, v132, -v179
	v_mul_f32_e32 v146, v153, v135
	v_fmac_f32_e32 v184, v155, v136
	v_fmac_f32_e32 v186, v248, v138
	;; [unrolled: 1-line block ×4, first 2 shown]
	v_fma_f32 v181, v152, v134, -v146
	v_mul_f32_e32 v146, v155, v137
	v_dual_add_f32 v192, v145, v184 :: v_dual_sub_f32 v155, v252, v253
	v_mul_f32_e32 v147, 0x3d64c772, v161
	s_delay_alu instid0(VALU_DEP_4) | instskip(NEXT) | instid1(VALU_DEP_4)
	v_add_f32_e32 v189, v179, v181
	v_fma_f32 v183, v154, v136, -v146
	v_mul_f32_e32 v146, v248, v139
	v_add_f32_e32 v193, v180, v182
	v_fma_f32 v147, 0x3f3bfb3b, v155, -v147
	v_sub_f32_e32 v154, v219, v218
	v_fma_f32 v152, 0x3f5ff5aa, v157, -v165
	v_fma_f32 v185, v247, v138, -v146
	v_mul_f32_e32 v146, v143, v129
	v_dual_add_f32 v159, v147, v163 :: v_dual_sub_f32 v156, v158, v156
	s_delay_alu instid0(VALU_DEP_4) | instskip(SKIP_1) | instid1(VALU_DEP_4)
	v_fmac_f32_e32 v152, 0x3ee1c552, v169
	v_fma_f32 v155, 0xbf3bfb3b, v155, -v171
	v_fma_f32 v187, v142, v128, -v146
	v_mul_f32_e32 v142, v142, v129
	v_fma_f32 v153, 0x3f5ff5aa, v156, -v168
	v_mul_f32_e32 v156, 0x3f5ff5aa, v156
	s_delay_alu instid0(VALU_DEP_4) | instskip(NEXT) | instid1(VALU_DEP_4)
	v_add_f32_e32 v188, v187, v185
	v_dual_fmac_f32 v142, v143, v128 :: v_dual_add_f32 v143, v144, v183
	s_delay_alu instid0(VALU_DEP_4) | instskip(NEXT) | instid1(VALU_DEP_2)
	v_fmac_f32_e32 v153, 0x3ee1c552, v167
	v_dual_add_f32 v191, v142, v186 :: v_dual_add_f32 v146, v143, v188
	s_delay_alu instid0(VALU_DEP_2)
	v_add_f32_e32 v147, v153, v159
	v_sub_f32_e32 v153, v159, v153
	v_add_f32_e32 v159, v155, v163
	v_sub_f32_e32 v161, v142, v186
	v_add_f32_e32 v190, v189, v146
	v_add_f32_e32 v146, v192, v191
	v_dual_sub_f32 v142, v144, v183 :: v_dual_sub_f32 v163, v182, v180
	v_sub_f32_e32 v165, v189, v143
	v_sub_f32_e32 v144, v145, v184
	s_delay_alu instid0(VALU_DEP_4) | instskip(SKIP_3) | instid1(VALU_DEP_4)
	v_add_f32_e32 v194, v193, v146
	v_mul_f32_e32 v146, 0x3d64c772, v160
	v_sub_f32_e32 v160, v187, v185
	v_add_f32_e32 v140, v140, v190
	v_add_f32_e32 v141, v141, v194
	s_delay_alu instid0(VALU_DEP_4) | instskip(SKIP_3) | instid1(VALU_DEP_4)
	v_fma_f32 v146, 0x3f3bfb3b, v154, -v146
	v_fma_f32 v154, 0xbf3bfb3b, v154, -v170
	v_sub_f32_e32 v168, v142, v160
	v_sub_f32_e32 v170, v144, v161
	v_add_f32_e32 v158, v146, v162
	s_delay_alu instid0(VALU_DEP_1)
	v_sub_f32_e32 v146, v158, v152
	v_add_f32_e32 v152, v152, v158
	v_fma_f32 v158, 0xbeae86e6, v164, -v156
	v_dual_mul_f32 v156, 0x3f5ff5aa, v157 :: v_dual_add_f32 v157, v154, v162
	v_sub_f32_e32 v162, v181, v179
	v_sub_f32_e32 v164, v143, v188
	s_delay_alu instid0(VALU_DEP_4) | instskip(NEXT) | instid1(VALU_DEP_3)
	v_dual_fmac_f32 v158, 0x3ee1c552, v167 :: v_dual_sub_f32 v167, v193, v192
	v_add_f32_e32 v143, v162, v142
	v_fma_f32 v156, 0xbeae86e6, v166, -v156
	s_delay_alu instid0(VALU_DEP_3) | instskip(SKIP_1) | instid1(VALU_DEP_3)
	v_sub_f32_e32 v155, v159, v158
	v_dual_sub_f32 v145, v162, v142 :: v_dual_add_f32 v142, v163, v144
	v_dual_add_f32 v171, v143, v160 :: v_dual_fmac_f32 v156, 0x3ee1c552, v169
	v_sub_f32_e32 v169, v163, v144
	v_dual_mul_f32 v143, 0x3d64c772, v165 :: v_dual_sub_f32 v166, v192, v191
	v_mul_f32_e32 v144, 0x3d64c772, v167
	s_delay_alu instid0(VALU_DEP_4)
	v_add_f32_e32 v154, v156, v157
	v_dual_sub_f32 v156, v157, v156 :: v_dual_add_f32 v157, v158, v159
	v_dual_sub_f32 v158, v177, v176 :: v_dual_mul_f32 v169, 0xbf08b237, v169
	v_add_f32_e32 v159, v172, v178
	ds_store_b64 v249, v[154:155] offset:4464
	ds_store_b64 v249, v[146:147] offset:6192
	;; [unrolled: 1-line block ×5, first 2 shown]
	v_sub_f32_e32 v146, v188, v189
	v_fmamk_f32 v172, v190, 0xbf955555, v140
	v_sub_f32_e32 v152, v160, v162
	v_fma_f32 v143, 0x3f3bfb3b, v164, -v143
	s_delay_alu instid0(VALU_DEP_4)
	v_dual_sub_f32 v153, v161, v163 :: v_dual_mul_f32 v146, 0x3f4a47b2, v146
	v_mul_f32_e32 v178, 0xbf08b237, v145
	v_sub_f32_e32 v147, v191, v193
	v_mul_f32_e32 v155, 0x3f5ff5aa, v168
	v_fmamk_f32 v176, v194, 0xbf955555, v141
	v_fmamk_f32 v157, v165, 0x3d64c772, v146
	v_fma_f32 v146, 0xbf3bfb3b, v164, -v146
	v_fma_f32 v144, 0x3f3bfb3b, v166, -v144
	v_mul_f32_e32 v147, 0x3f4a47b2, v147
	v_fmamk_f32 v154, v152, 0x3eae86e6, v178
	v_fma_f32 v156, 0xbeae86e6, v152, -v155
	v_add_f32_e32 v160, v146, v172
	scratch_load_b32 v146, off, off offset:444 ; 4-byte Folded Reload
	v_dual_mul_f32 v152, 0x3f5ff5aa, v170 :: v_dual_add_f32 v177, v142, v161
	v_add_f32_e32 v179, v144, v176
	v_fma_f32 v144, 0x3f5ff5aa, v170, -v169
	v_fma_f32 v180, 0x3f5ff5aa, v168, -v178
	v_fmamk_f32 v159, v167, 0x3d64c772, v147
	v_fma_f32 v147, 0xbf3bfb3b, v166, -v147
	v_fmamk_f32 v155, v153, 0x3eae86e6, v169
	v_fma_f32 v158, 0xbeae86e6, v153, -v152
	v_dual_add_f32 v145, v143, v172 :: v_dual_fmac_f32 v144, 0x3ee1c552, v177
	v_dual_fmac_f32 v180, 0x3ee1c552, v171 :: v_dual_add_f32 v157, v157, v172
	v_add_f32_e32 v159, v159, v176
	v_dual_add_f32 v161, v147, v176 :: v_dual_fmac_f32 v154, 0x3ee1c552, v171
	v_dual_fmac_f32 v156, 0x3ee1c552, v171 :: v_dual_fmac_f32 v155, 0x3ee1c552, v177
	v_fmac_f32_e32 v158, 0x3ee1c552, v177
	v_dual_sub_f32 v142, v145, v144 :: v_dual_add_f32 v143, v180, v179
	s_delay_alu instid0(VALU_DEP_3)
	v_add_f32_e32 v147, v156, v161
	v_dual_add_f32 v144, v144, v145 :: v_dual_sub_f32 v145, v179, v180
	v_sub_f32_e32 v152, v157, v155
	v_add_f32_e32 v153, v154, v159
	s_waitcnt vmcnt(0)
	v_lshlrev_b32_e32 v165, 3, v146
	scratch_load_b32 v146, off, off offset:440 ; 4-byte Folded Reload
	s_waitcnt vmcnt(0)
	v_lshlrev_b32_e32 v164, 4, v146
	scratch_load_b32 v146, off, off offset:448 ; 4-byte Folded Reload
	;; [unrolled: 3-line block ×3, first 2 shown]
	s_waitcnt vmcnt(0)
	v_lshlrev_b32_e32 v162, 4, v146
	v_sub_f32_e32 v146, v160, v158
	s_and_saveexec_b32 s0, vcc_lo
	s_cbranch_execz .LBB0_5
; %bb.4:
	v_dual_sub_f32 v161, v161, v156 :: v_dual_sub_f32 v156, v159, v154
	v_dual_add_f32 v160, v158, v160 :: v_dual_add_f32 v155, v155, v157
	v_add_nc_u32_e32 v154, 0x500, v249
	v_add_nc_u32_e32 v157, 0x1300, v249
	;; [unrolled: 1-line block ×3, first 2 shown]
	ds_store_2addr_b64 v154, v[140:141], v[155:156] offset0:29 offset1:245
	ds_store_2addr_b64 v157, v[160:161], v[142:143] offset0:13 offset1:229
	;; [unrolled: 1-line block ×3, first 2 shown]
	ds_store_b64 v249, v[152:153] offset:11880
.LBB0_5:
	s_or_b32 exec_lo, exec_lo, s0
	scratch_load_b32 v220, off, off offset:8 ; 4-byte Folded Reload
	s_waitcnt vmcnt(0) lgkmcnt(0)
	s_waitcnt_vscnt null, 0x0
	s_barrier
	buffer_gl0_inv
	v_lshlrev_b32_e32 v140, 3, v220
	s_delay_alu instid0(VALU_DEP_1) | instskip(NEXT) | instid1(VALU_DEP_1)
	v_add_co_u32 v154, s0, s8, v140
	v_add_co_ci_u32_e64 v155, null, s9, 0, s0
	s_delay_alu instid0(VALU_DEP_2) | instskip(NEXT) | instid1(VALU_DEP_1)
	v_add_co_u32 v140, s0, 0x2000, v154
	v_add_co_ci_u32_e64 v141, s0, 0, v155, s0
	v_add_co_u32 v160, s0, 0x4000, v154
	s_delay_alu instid0(VALU_DEP_1)
	v_add_co_ci_u32_e64 v161, s0, 0, v155, s0
	global_load_b64 v[140:141], v[140:141], off offset:3904
	v_add_co_u32 v180, s0, 0x2f40, v154
	s_clause 0x2
	global_load_b64 v[170:171], v[160:161], off offset:248
	global_load_b64 v[176:177], v[160:161], off offset:752
	;; [unrolled: 1-line block ×3, first 2 shown]
	ds_load_2addr_b64 v[156:159], v249 offset1:63
	v_add_co_ci_u32_e64 v181, s0, 0, v155, s0
	s_waitcnt vmcnt(3) lgkmcnt(0)
	v_mul_f32_e32 v167, v156, v141
	v_mul_f32_e32 v166, v157, v141
	s_delay_alu instid0(VALU_DEP_2) | instskip(NEXT) | instid1(VALU_DEP_2)
	v_fmac_f32_e32 v167, v157, v140
	v_fma_f32 v166, v156, v140, -v166
	s_clause 0x3
	global_load_b64 v[140:141], v[180:181], off offset:504
	global_load_b64 v[168:169], v[180:181], off offset:1008
	;; [unrolled: 1-line block ×4, first 2 shown]
	s_waitcnt vmcnt(3)
	v_mul_f32_e32 v156, v159, v141
	ds_store_b64 v249, v[166:167]
	s_clause 0x3
	global_load_b64 v[166:167], v[160:161], off offset:1760
	global_load_b64 v[188:189], v[160:161], off offset:2264
	;; [unrolled: 1-line block ×4, first 2 shown]
	v_mul_f32_e32 v187, v158, v141
	v_fma_f32 v186, v158, v140, -v156
	s_delay_alu instid0(VALU_DEP_2)
	v_dual_fmac_f32 v187, v159, v140 :: v_dual_add_nc_u32 v140, 0x1400, v249
	ds_load_2addr_b64 v[156:159], v140 offset0:116 offset1:179
	s_waitcnt vmcnt(3) lgkmcnt(0)
	v_mul_f32_e32 v141, v157, v167
	v_mul_f32_e32 v195, v156, v167
	s_waitcnt vmcnt(2)
	v_mul_f32_e32 v197, v158, v189
	s_delay_alu instid0(VALU_DEP_3) | instskip(SKIP_2) | instid1(VALU_DEP_4)
	v_fma_f32 v194, v156, v166, -v141
	v_mul_f32_e32 v141, v159, v189
	v_fmac_f32_e32 v195, v157, v166
	v_fmac_f32_e32 v197, v159, v188
	s_delay_alu instid0(VALU_DEP_3)
	v_fma_f32 v196, v158, v188, -v141
	ds_load_2addr_b64 v[156:159], v249 offset0:126 offset1:189
	s_waitcnt lgkmcnt(0)
	v_mul_f32_e32 v141, v157, v169
	v_mul_f32_e32 v189, v156, v169
	;; [unrolled: 1-line block ×3, first 2 shown]
	s_delay_alu instid0(VALU_DEP_3) | instskip(SKIP_1) | instid1(VALU_DEP_4)
	v_fma_f32 v188, v156, v168, -v141
	v_mul_f32_e32 v141, v159, v183
	v_fmac_f32_e32 v189, v157, v168
	s_delay_alu instid0(VALU_DEP_4) | instskip(NEXT) | instid1(VALU_DEP_3)
	v_fmac_f32_e32 v199, v159, v182
	v_fma_f32 v198, v158, v182, -v141
	v_add_nc_u32_e32 v141, 0x1800, v249
	ds_load_2addr_b64 v[156:159], v141 offset0:114 offset1:177
	s_waitcnt vmcnt(1) lgkmcnt(0)
	v_mul_f32_e32 v166, v157, v191
	v_mul_f32_e32 v183, v156, v191
	s_waitcnt vmcnt(0)
	v_mul_f32_e32 v191, v158, v193
	s_delay_alu instid0(VALU_DEP_3) | instskip(SKIP_1) | instid1(VALU_DEP_3)
	v_fma_f32 v182, v156, v190, -v166
	v_mul_f32_e32 v156, v159, v193
	v_fmac_f32_e32 v191, v159, v192
	v_add_nc_u32_e32 v159, 0x400, v249
	v_fmac_f32_e32 v183, v157, v190
	s_delay_alu instid0(VALU_DEP_4) | instskip(SKIP_4) | instid1(VALU_DEP_2)
	v_fma_f32 v190, v158, v192, -v156
	ds_load_2addr_b64 v[166:169], v159 offset0:124 offset1:187
	s_waitcnt lgkmcnt(0)
	v_mul_f32_e32 v156, v167, v185
	v_mul_f32_e32 v193, v166, v185
	v_fma_f32 v192, v166, v184, -v156
	s_delay_alu instid0(VALU_DEP_2)
	v_fmac_f32_e32 v193, v167, v184
	s_clause 0x3
	global_load_b64 v[156:157], v[180:181], off offset:2520
	global_load_b64 v[184:185], v[180:181], off offset:3024
	;; [unrolled: 1-line block ×4, first 2 shown]
	s_waitcnt vmcnt(3)
	v_mul_f32_e32 v158, v169, v157
	v_mul_f32_e32 v203, v168, v157
	v_add_co_u32 v157, s0, 0x5000, v154
	s_delay_alu instid0(VALU_DEP_3)
	v_fma_f32 v202, v168, v156, -v158
	v_add_co_ci_u32_e64 v158, s0, 0, v155, s0
	s_clause 0x3
	global_load_b64 v[154:155], v[160:161], off offset:3776
	global_load_b64 v[160:161], v[157:158], off offset:184
	;; [unrolled: 1-line block ×4, first 2 shown]
	v_dual_fmac_f32 v203, v169, v156 :: v_dual_add_nc_u32 v156, 0x1c00, v249
	ds_load_2addr_b64 v[166:169], v156 offset0:112 offset1:175
	s_waitcnt vmcnt(3) lgkmcnt(0)
	v_mul_f32_e32 v172, v167, v155
	v_mul_f32_e32 v209, v166, v155
	s_waitcnt vmcnt(2)
	v_mul_f32_e32 v211, v168, v161
	s_delay_alu instid0(VALU_DEP_3) | instskip(NEXT) | instid1(VALU_DEP_3)
	v_fma_f32 v208, v166, v154, -v172
	v_dual_fmac_f32 v209, v167, v154 :: v_dual_mul_f32 v154, v169, v161
	s_delay_alu instid0(VALU_DEP_3) | instskip(SKIP_1) | instid1(VALU_DEP_3)
	v_fmac_f32_e32 v211, v169, v160
	v_add_nc_u32_e32 v161, 0xc00, v249
	v_fma_f32 v210, v168, v160, -v154
	v_add_nc_u32_e32 v154, 0x800, v249
	ds_load_2addr_b64 v[166:169], v154 offset0:122 offset1:185
	s_waitcnt lgkmcnt(0)
	v_mul_f32_e32 v155, v167, v185
	v_mul_f32_e32 v213, v166, v185
	;; [unrolled: 1-line block ×3, first 2 shown]
	s_delay_alu instid0(VALU_DEP_3) | instskip(SKIP_1) | instid1(VALU_DEP_4)
	v_fma_f32 v212, v166, v184, -v155
	v_mul_f32_e32 v155, v169, v201
	v_fmac_f32_e32 v213, v167, v184
	s_delay_alu instid0(VALU_DEP_4) | instskip(NEXT) | instid1(VALU_DEP_3)
	v_fmac_f32_e32 v185, v169, v200
	v_fma_f32 v184, v168, v200, -v155
	v_add_nc_u32_e32 v155, 0x2000, v249
	ds_load_2addr_b64 v[166:169], v155 offset0:110 offset1:173
	s_waitcnt vmcnt(1) lgkmcnt(0)
	v_mul_f32_e32 v160, v167, v205
	v_mul_f32_e32 v201, v166, v205
	s_waitcnt vmcnt(0)
	v_mul_f32_e32 v205, v168, v207
	s_delay_alu instid0(VALU_DEP_3) | instskip(NEXT) | instid1(VALU_DEP_3)
	v_fma_f32 v200, v166, v204, -v160
	v_dual_mul_f32 v160, v169, v207 :: v_dual_fmac_f32 v201, v167, v204
	s_delay_alu instid0(VALU_DEP_3) | instskip(NEXT) | instid1(VALU_DEP_2)
	v_fmac_f32_e32 v205, v169, v206
	v_fma_f32 v204, v168, v206, -v160
	ds_load_2addr_b64 v[166:169], v161 offset0:120 offset1:183
	s_waitcnt lgkmcnt(0)
	v_mul_f32_e32 v160, v167, v181
	v_mul_f32_e32 v207, v166, v181
	;; [unrolled: 1-line block ×3, first 2 shown]
	s_delay_alu instid0(VALU_DEP_3) | instskip(NEXT) | instid1(VALU_DEP_3)
	v_fma_f32 v206, v166, v180, -v160
	v_dual_mul_f32 v160, v169, v171 :: v_dual_fmac_f32 v207, v167, v180
	s_delay_alu instid0(VALU_DEP_3) | instskip(NEXT) | instid1(VALU_DEP_2)
	v_fmac_f32_e32 v181, v169, v170
	v_fma_f32 v180, v168, v170, -v160
	s_clause 0x3
	global_load_b64 v[170:171], v[157:158], off offset:1696
	global_load_b64 v[214:215], v[157:158], off offset:2200
	;; [unrolled: 1-line block ×4, first 2 shown]
	v_add_nc_u32_e32 v160, 0x2400, v249
	ds_load_2addr_b64 v[166:169], v160 offset0:108 offset1:171
	s_waitcnt vmcnt(3) lgkmcnt(0)
	v_mul_f32_e32 v157, v167, v171
	v_mul_f32_e32 v248, v166, v171
	s_waitcnt vmcnt(2)
	v_mul_f32_e32 v171, v168, v215
	s_delay_alu instid0(VALU_DEP_3) | instskip(NEXT) | instid1(VALU_DEP_3)
	v_fma_f32 v247, v166, v170, -v157
	v_dual_mul_f32 v157, v169, v215 :: v_dual_fmac_f32 v248, v167, v170
	s_delay_alu instid0(VALU_DEP_3) | instskip(NEXT) | instid1(VALU_DEP_2)
	v_fmac_f32_e32 v171, v169, v214
	v_fma_f32 v170, v168, v214, -v157
	v_add_nc_u32_e32 v157, 0x1000, v249
	ds_load_2addr_b64 v[166:169], v157 offset0:118 offset1:181
	s_waitcnt lgkmcnt(0)
	v_mul_f32_e32 v158, v167, v177
	v_mul_f32_e32 v215, v166, v177
	v_mul_f32_e32 v177, v168, v179
	s_delay_alu instid0(VALU_DEP_3) | instskip(NEXT) | instid1(VALU_DEP_3)
	v_fma_f32 v214, v166, v176, -v158
	v_dual_mul_f32 v158, v169, v179 :: v_dual_fmac_f32 v215, v167, v176
	s_delay_alu instid0(VALU_DEP_3) | instskip(NEXT) | instid1(VALU_DEP_2)
	v_fmac_f32_e32 v177, v169, v178
	v_fma_f32 v176, v168, v178, -v158
	v_add_nc_u32_e32 v158, 0x2800, v249
	ds_load_2addr_b64 v[166:169], v158 offset0:106 offset1:169
	s_waitcnt vmcnt(1) lgkmcnt(0)
	v_mul_f32_e32 v172, v167, v217
	v_mul_f32_e32 v179, v166, v217
	s_delay_alu instid0(VALU_DEP_2) | instskip(SKIP_1) | instid1(VALU_DEP_2)
	v_fma_f32 v178, v166, v216, -v172
	s_waitcnt vmcnt(0)
	v_dual_fmac_f32 v179, v167, v216 :: v_dual_mul_f32 v166, v169, v219
	v_mul_f32_e32 v167, v168, v219
	s_delay_alu instid0(VALU_DEP_2) | instskip(NEXT) | instid1(VALU_DEP_2)
	v_fma_f32 v166, v168, v218, -v166
	v_fmac_f32_e32 v167, v169, v218
	ds_store_2addr_b64 v249, v[186:187], v[188:189] offset0:63 offset1:126
	ds_store_2addr_b64 v141, v[196:197], v[182:183] offset0:51 offset1:114
	;; [unrolled: 1-line block ×11, first 2 shown]
	ds_store_b64 v249, v[166:167] offset:11592
	s_waitcnt lgkmcnt(0)
	s_barrier
	buffer_gl0_inv
	ds_load_2addr_b64 v[166:169], v249 offset1:63
	ds_load_2addr_b64 v[176:179], v140 offset0:116 offset1:179
	ds_load_2addr_b64 v[184:187], v249 offset0:126 offset1:189
	;; [unrolled: 1-line block ×11, first 2 shown]
	s_waitcnt lgkmcnt(0)
	s_barrier
	buffer_gl0_inv
	v_dual_sub_f32 v182, v166, v176 :: v_dual_sub_f32 v183, v167, v177
	v_dual_sub_f32 v170, v168, v178 :: v_dual_sub_f32 v171, v169, v179
	s_delay_alu instid0(VALU_DEP_2)
	v_fma_f32 v180, v166, 2.0, -v182
	scratch_load_b32 v166, off, off offset:204 ; 4-byte Folded Reload
	v_fma_f32 v181, v167, 2.0, -v183
	v_fma_f32 v168, v168, 2.0, -v170
	;; [unrolled: 1-line block ×3, first 2 shown]
	s_waitcnt vmcnt(0)
	ds_store_b128 v166, v[180:183]
	scratch_load_b32 v166, off, off offset:432 ; 4-byte Folded Reload
	s_waitcnt vmcnt(0)
	ds_store_b128 v166, v[168:171]
	scratch_load_b32 v170, off, off offset:428 ; 4-byte Folded Reload
	v_dual_sub_f32 v168, v184, v188 :: v_dual_sub_f32 v169, v185, v189
	s_delay_alu instid0(VALU_DEP_1) | instskip(NEXT) | instid1(VALU_DEP_2)
	v_fma_f32 v166, v184, 2.0, -v168
	v_fma_f32 v167, v185, 2.0, -v169
	s_waitcnt vmcnt(0)
	ds_store_b128 v170, v[166:169]
	scratch_load_b32 v170, off, off offset:424 ; 4-byte Folded Reload
	v_dual_sub_f32 v168, v186, v190 :: v_dual_sub_f32 v169, v187, v191
	s_delay_alu instid0(VALU_DEP_1) | instskip(NEXT) | instid1(VALU_DEP_2)
	v_fma_f32 v166, v186, 2.0, -v168
	v_fma_f32 v167, v187, 2.0, -v169
	;; [unrolled: 7-line block ×6, first 2 shown]
	s_waitcnt vmcnt(0)
	ds_store_b128 v170, v[166:169]
	v_dual_sub_f32 v168, v208, v212 :: v_dual_sub_f32 v169, v209, v213
	s_delay_alu instid0(VALU_DEP_1) | instskip(NEXT) | instid1(VALU_DEP_2)
	v_fma_f32 v166, v208, 2.0, -v168
	v_fma_f32 v167, v209, 2.0, -v169
	ds_store_b128 v165, v[166:169]
	v_dual_sub_f32 v167, v210, v214 :: v_dual_sub_f32 v168, v211, v215
	s_delay_alu instid0(VALU_DEP_1) | instskip(NEXT) | instid1(VALU_DEP_2)
	v_fma_f32 v165, v210, 2.0, -v167
	v_fma_f32 v166, v211, 2.0, -v168
	;; [unrolled: 5-line block ×4, first 2 shown]
	ds_store_b128 v162, v[163:166]
	s_waitcnt lgkmcnt(0)
	s_barrier
	buffer_gl0_inv
	ds_load_2addr_b64 v[162:165], v141 offset0:114 offset1:177
	s_waitcnt lgkmcnt(0)
	v_mul_f32_e32 v172, v246, v165
	s_delay_alu instid0(VALU_DEP_1) | instskip(NEXT) | instid1(VALU_DEP_1)
	v_dual_mul_f32 v191, v238, v163 :: v_dual_fmac_f32 v172, v245, v164
	v_dual_mul_f32 v164, v246, v164 :: v_dual_fmac_f32 v191, v237, v162
	v_mul_f32_e32 v162, v238, v162
	s_delay_alu instid0(VALU_DEP_2) | instskip(NEXT) | instid1(VALU_DEP_2)
	v_fma_f32 v190, v245, v165, -v164
	v_fma_f32 v192, v237, v163, -v162
	ds_load_2addr_b64 v[162:165], v156 offset0:112 offset1:175
	s_waitcnt lgkmcnt(0)
	v_mul_f32_e32 v193, v244, v165
	v_mul_f32_e32 v195, v238, v163
	s_delay_alu instid0(VALU_DEP_2) | instskip(NEXT) | instid1(VALU_DEP_2)
	v_fmac_f32_e32 v193, v243, v164
	v_dual_mul_f32 v164, v244, v164 :: v_dual_fmac_f32 v195, v237, v162
	v_mul_f32_e32 v162, v238, v162
	s_delay_alu instid0(VALU_DEP_2) | instskip(NEXT) | instid1(VALU_DEP_2)
	v_fma_f32 v194, v243, v165, -v164
	v_fma_f32 v196, v237, v163, -v162
	ds_load_2addr_b64 v[162:165], v155 offset0:110 offset1:173
	s_waitcnt lgkmcnt(0)
	v_mul_f32_e32 v197, v242, v165
	v_mul_f32_e32 v199, v238, v163
	s_delay_alu instid0(VALU_DEP_2) | instskip(NEXT) | instid1(VALU_DEP_2)
	v_fmac_f32_e32 v197, v241, v164
	v_dual_mul_f32 v164, v242, v164 :: v_dual_fmac_f32 v199, v237, v162
	v_mul_f32_e32 v162, v238, v162
	s_delay_alu instid0(VALU_DEP_2) | instskip(NEXT) | instid1(VALU_DEP_2)
	v_fma_f32 v198, v241, v165, -v164
	v_fma_f32 v200, v237, v163, -v162
	ds_load_2addr_b64 v[162:165], v160 offset0:108 offset1:171
	s_waitcnt lgkmcnt(0)
	v_mul_f32_e32 v201, v240, v165
	v_mul_f32_e32 v203, v238, v163
	s_delay_alu instid0(VALU_DEP_2) | instskip(NEXT) | instid1(VALU_DEP_2)
	v_fmac_f32_e32 v201, v239, v164
	v_dual_mul_f32 v164, v240, v164 :: v_dual_fmac_f32 v203, v237, v162
	v_mul_f32_e32 v162, v238, v162
	s_delay_alu instid0(VALU_DEP_2) | instskip(NEXT) | instid1(VALU_DEP_2)
	v_fma_f32 v202, v239, v165, -v164
	v_fma_f32 v204, v237, v163, -v162
	ds_load_2addr_b64 v[162:165], v158 offset0:106 offset1:169
	s_waitcnt lgkmcnt(0)
	v_dual_mul_f32 v206, v238, v163 :: v_dual_mul_f32 v205, v175, v165
	v_mul_f32_e32 v166, v175, v164
	s_delay_alu instid0(VALU_DEP_2) | instskip(NEXT) | instid1(VALU_DEP_3)
	v_fmac_f32_e32 v206, v237, v162
	v_dual_mul_f32 v162, v238, v162 :: v_dual_fmac_f32 v205, v235, v164
	s_delay_alu instid0(VALU_DEP_3) | instskip(NEXT) | instid1(VALU_DEP_2)
	v_fma_f32 v208, v235, v165, -v166
	v_fma_f32 v207, v237, v163, -v162
	ds_load_2addr_b64 v[162:165], v140 offset0:116 offset1:179
	s_waitcnt lgkmcnt(0)
	v_dual_mul_f32 v166, v238, v163 :: v_dual_mul_f32 v209, v236, v165
	s_delay_alu instid0(VALU_DEP_1) | instskip(SKIP_1) | instid1(VALU_DEP_3)
	v_fmac_f32_e32 v166, v237, v162
	v_mul_f32_e32 v162, v238, v162
	v_fmac_f32_e32 v209, v174, v164
	s_delay_alu instid0(VALU_DEP_2) | instskip(SKIP_1) | instid1(VALU_DEP_1)
	v_fma_f32 v167, v237, v163, -v162
	v_mul_f32_e32 v162, v236, v164
	v_fma_f32 v210, v174, v165, -v162
	ds_load_2addr_b64 v[162:165], v249 offset1:63
	s_waitcnt lgkmcnt(0)
	v_dual_sub_f32 v170, v162, v166 :: v_dual_sub_f32 v171, v163, v167
	ds_load_2addr_b64 v[166:169], v249 offset0:126 offset1:189
	ds_load_2addr_b64 v[174:177], v159 offset0:124 offset1:187
	;; [unrolled: 1-line block ×5, first 2 shown]
	s_waitcnt lgkmcnt(0)
	s_barrier
	buffer_gl0_inv
	scratch_load_b32 v211, off, off offset:404 ; 4-byte Folded Reload
	v_fma_f32 v162, v162, 2.0, -v170
	v_fma_f32 v163, v163, 2.0, -v171
	s_waitcnt vmcnt(0)
	ds_store_2addr_b64 v211, v[162:163], v[170:171] offset1:2
	scratch_load_b32 v170, off, off offset:400 ; 4-byte Folded Reload
	v_dual_sub_f32 v162, v164, v209 :: v_dual_sub_f32 v163, v165, v210
	s_delay_alu instid0(VALU_DEP_1) | instskip(NEXT) | instid1(VALU_DEP_2)
	v_fma_f32 v164, v164, 2.0, -v162
	v_fma_f32 v165, v165, 2.0, -v163
	s_waitcnt vmcnt(0)
	ds_store_2addr_b64 v170, v[164:165], v[162:163] offset1:2
	v_dual_sub_f32 v162, v166, v191 :: v_dual_sub_f32 v163, v167, v192
	s_delay_alu instid0(VALU_DEP_1)
	v_fma_f32 v164, v166, 2.0, -v162
	scratch_load_b32 v166, off, off offset:396 ; 4-byte Folded Reload
	v_fma_f32 v165, v167, 2.0, -v163
	s_waitcnt vmcnt(0)
	ds_store_2addr_b64 v166, v[164:165], v[162:163] offset1:2
	scratch_load_b32 v166, off, off offset:392 ; 4-byte Folded Reload
	v_dual_sub_f32 v162, v168, v172 :: v_dual_sub_f32 v163, v169, v190
	s_delay_alu instid0(VALU_DEP_1) | instskip(NEXT) | instid1(VALU_DEP_2)
	v_fma_f32 v164, v168, 2.0, -v162
	v_fma_f32 v165, v169, 2.0, -v163
	s_waitcnt vmcnt(0)
	ds_store_2addr_b64 v166, v[164:165], v[162:163] offset1:2
	scratch_load_b32 v166, off, off offset:388 ; 4-byte Folded Reload
	v_dual_sub_f32 v162, v174, v195 :: v_dual_sub_f32 v163, v175, v196
	s_delay_alu instid0(VALU_DEP_1) | instskip(NEXT) | instid1(VALU_DEP_2)
	v_fma_f32 v164, v174, 2.0, -v162
	;; [unrolled: 7-line block ×9, first 2 shown]
	v_fma_f32 v165, v189, 2.0, -v163
	s_waitcnt vmcnt(0)
	ds_store_2addr_b64 v166, v[164:165], v[162:163] offset1:2
	s_waitcnt lgkmcnt(0)
	s_barrier
	buffer_gl0_inv
	ds_load_2addr_b64 v[162:165], v155 offset0:110 offset1:173
	scratch_load_b32 v170, off, off offset:324 ; 4-byte Folded Reload
	s_waitcnt lgkmcnt(0)
	v_mul_f32_e32 v188, v230, v163
	v_mul_f32_e32 v190, v234, v165
	s_delay_alu instid0(VALU_DEP_2) | instskip(SKIP_1) | instid1(VALU_DEP_3)
	v_fmac_f32_e32 v188, v229, v162
	v_mul_f32_e32 v162, v230, v162
	v_fmac_f32_e32 v190, v233, v164
	s_delay_alu instid0(VALU_DEP_2) | instskip(SKIP_1) | instid1(VALU_DEP_1)
	v_fma_f32 v189, v229, v163, -v162
	v_mul_f32_e32 v162, v234, v164
	v_fma_f32 v191, v233, v165, -v162
	ds_load_2addr_b64 v[162:165], v156 offset0:112 offset1:175
	s_waitcnt lgkmcnt(0)
	v_mul_f32_e32 v192, v232, v165
	v_mul_f32_e32 v194, v224, v163
	s_delay_alu instid0(VALU_DEP_2) | instskip(SKIP_1) | instid1(VALU_DEP_3)
	v_fmac_f32_e32 v192, v231, v164
	v_mul_f32_e32 v164, v232, v164
	v_fmac_f32_e32 v194, v223, v162
	v_mul_f32_e32 v162, v224, v162
	s_delay_alu instid0(VALU_DEP_3) | instskip(NEXT) | instid1(VALU_DEP_2)
	v_fma_f32 v193, v231, v165, -v164
	v_fma_f32 v195, v223, v163, -v162
	ds_load_2addr_b64 v[162:165], v160 offset0:108 offset1:171
	s_waitcnt lgkmcnt(0)
	v_dual_mul_f32 v197, v224, v163 :: v_dual_mul_f32 v196, v255, v165
	v_mul_f32_e32 v166, v255, v164
	s_delay_alu instid0(VALU_DEP_2) | instskip(SKIP_1) | instid1(VALU_DEP_4)
	v_fmac_f32_e32 v197, v223, v162
	v_mul_f32_e32 v162, v224, v162
	v_fmac_f32_e32 v196, v221, v164
	s_delay_alu instid0(VALU_DEP_4) | instskip(NEXT) | instid1(VALU_DEP_3)
	v_fma_f32 v199, v221, v165, -v166
	v_fma_f32 v198, v223, v163, -v162
	ds_load_2addr_b64 v[162:165], v140 offset0:116 offset1:179
	s_waitcnt lgkmcnt(0)
	v_mul_f32_e32 v166, v224, v163
	v_mul_f32_e32 v200, v222, v165
	s_delay_alu instid0(VALU_DEP_2) | instskip(SKIP_1) | instid1(VALU_DEP_1)
	v_fmac_f32_e32 v166, v223, v162
	v_mul_f32_e32 v162, v224, v162
	v_fma_f32 v167, v223, v163, -v162
	scratch_load_b32 v163, off, off offset:316 ; 4-byte Folded Reload
	v_mul_f32_e32 v162, v222, v164
	s_waitcnt vmcnt(0)
	v_fmac_f32_e32 v200, v163, v164
	s_delay_alu instid0(VALU_DEP_2) | instskip(SKIP_4) | instid1(VALU_DEP_2)
	v_fma_f32 v201, v163, v165, -v162
	ds_load_2addr_b64 v[162:165], v158 offset0:106 offset1:169
	s_waitcnt lgkmcnt(0)
	v_mul_f32_e32 v202, v254, v163
	v_dual_mul_f32 v168, v254, v162 :: v_dual_mul_f32 v203, v173, v165
	v_fmac_f32_e32 v202, v225, v162
	v_mul_f32_e32 v169, v173, v164
	s_delay_alu instid0(VALU_DEP_3) | instskip(NEXT) | instid1(VALU_DEP_4)
	v_fma_f32 v204, v225, v163, -v168
	v_fmac_f32_e32 v203, v227, v164
	s_delay_alu instid0(VALU_DEP_3) | instskip(SKIP_4) | instid1(VALU_DEP_2)
	v_fma_f32 v205, v227, v165, -v169
	ds_load_2addr_b64 v[162:165], v141 offset0:114 offset1:177
	s_waitcnt lgkmcnt(0)
	v_mul_f32_e32 v206, v226, v163
	v_dual_mul_f32 v168, v226, v162 :: v_dual_mul_f32 v207, v228, v165
	v_dual_mul_f32 v169, v228, v164 :: v_dual_fmac_f32 v206, v170, v162
	scratch_load_b32 v162, off, off offset:328 ; 4-byte Folded Reload
	v_fma_f32 v208, v170, v163, -v168
	s_waitcnt vmcnt(0)
	v_fmac_f32_e32 v207, v162, v164
	v_fma_f32 v209, v162, v165, -v169
	ds_load_2addr_b64 v[162:165], v249 offset1:63
	s_waitcnt lgkmcnt(0)
	v_dual_sub_f32 v186, v162, v166 :: v_dual_sub_f32 v187, v163, v167
	ds_load_2addr_b64 v[166:169], v249 offset0:126 offset1:189
	ds_load_2addr_b64 v[170:173], v159 offset0:124 offset1:187
	;; [unrolled: 1-line block ×5, first 2 shown]
	s_waitcnt lgkmcnt(0)
	s_barrier
	buffer_gl0_inv
	scratch_load_b32 v210, off, off offset:356 ; 4-byte Folded Reload
	v_fma_f32 v162, v162, 2.0, -v186
	v_fma_f32 v163, v163, 2.0, -v187
	s_waitcnt vmcnt(0)
	ds_store_2addr_b64 v210, v[162:163], v[186:187] offset1:4
	scratch_load_b32 v186, off, off offset:352 ; 4-byte Folded Reload
	v_dual_sub_f32 v162, v164, v200 :: v_dual_sub_f32 v163, v165, v201
	s_delay_alu instid0(VALU_DEP_1) | instskip(NEXT) | instid1(VALU_DEP_2)
	v_fma_f32 v164, v164, 2.0, -v162
	v_fma_f32 v165, v165, 2.0, -v163
	s_waitcnt vmcnt(0)
	ds_store_2addr_b64 v186, v[164:165], v[162:163] offset1:4
	v_dual_sub_f32 v162, v166, v206 :: v_dual_sub_f32 v163, v167, v208
	s_delay_alu instid0(VALU_DEP_1)
	v_fma_f32 v164, v166, 2.0, -v162
	scratch_load_b32 v166, off, off offset:348 ; 4-byte Folded Reload
	v_fma_f32 v165, v167, 2.0, -v163
	s_waitcnt vmcnt(0)
	ds_store_2addr_b64 v166, v[164:165], v[162:163] offset1:4
	scratch_load_b32 v166, off, off offset:344 ; 4-byte Folded Reload
	v_dual_sub_f32 v162, v168, v207 :: v_dual_sub_f32 v163, v169, v209
	s_delay_alu instid0(VALU_DEP_1) | instskip(NEXT) | instid1(VALU_DEP_2)
	v_fma_f32 v164, v168, 2.0, -v162
	v_fma_f32 v165, v169, 2.0, -v163
	s_waitcnt vmcnt(0)
	ds_store_2addr_b64 v166, v[164:165], v[162:163] offset1:4
	scratch_load_b32 v166, off, off offset:340 ; 4-byte Folded Reload
	v_dual_sub_f32 v162, v170, v194 :: v_dual_sub_f32 v163, v171, v195
	s_delay_alu instid0(VALU_DEP_1) | instskip(NEXT) | instid1(VALU_DEP_2)
	v_fma_f32 v164, v170, 2.0, -v162
	;; [unrolled: 7-line block ×9, first 2 shown]
	v_fma_f32 v165, v185, 2.0, -v163
	s_waitcnt vmcnt(0)
	ds_store_2addr_b64 v166, v[164:165], v[162:163] offset1:4
	s_waitcnt lgkmcnt(0)
	s_barrier
	buffer_gl0_inv
	ds_load_2addr_b64 v[162:165], v161 offset0:120 offset1:183
	ds_load_2addr_b64 v[166:169], v156 offset0:112 offset1:175
	s_waitcnt lgkmcnt(1)
	v_mul_f32_e32 v170, v125, v163
	v_mul_f32_e32 v125, v125, v162
	s_delay_alu instid0(VALU_DEP_2) | instskip(NEXT) | instid1(VALU_DEP_2)
	v_fmac_f32_e32 v170, v124, v162
	v_fma_f32 v162, v124, v163, -v125
	s_waitcnt lgkmcnt(0)
	v_mul_f32_e32 v163, v127, v167
	v_mul_f32_e32 v124, v127, v166
	s_delay_alu instid0(VALU_DEP_2) | instskip(NEXT) | instid1(VALU_DEP_2)
	v_fmac_f32_e32 v163, v126, v166
	v_fma_f32 v166, v126, v167, -v124
	v_mul_f32_e32 v167, v117, v165
	v_mul_f32_e32 v117, v117, v164
	ds_load_2addr_b64 v[124:127], v155 offset0:110 offset1:173
	v_fmac_f32_e32 v167, v116, v164
	v_fma_f32 v164, v116, v165, -v117
	v_mul_f32_e32 v165, v119, v169
	v_mul_f32_e32 v116, v119, v168
	s_delay_alu instid0(VALU_DEP_2) | instskip(NEXT) | instid1(VALU_DEP_2)
	v_fmac_f32_e32 v165, v118, v168
	v_fma_f32 v168, v118, v169, -v116
	ds_load_2addr_b64 v[116:119], v157 offset0:118 offset1:181
	s_waitcnt lgkmcnt(0)
	v_mul_f32_e32 v169, v121, v117
	s_delay_alu instid0(VALU_DEP_1) | instskip(SKIP_1) | instid1(VALU_DEP_1)
	v_fmac_f32_e32 v169, v120, v116
	v_dual_mul_f32 v116, v121, v116 :: v_dual_mul_f32 v121, v123, v125
	v_fma_f32 v120, v120, v117, -v116
	v_dual_mul_f32 v116, v123, v124 :: v_dual_mul_f32 v123, v109, v119
	v_mul_f32_e32 v109, v109, v118
	s_delay_alu instid0(VALU_DEP_4) | instskip(NEXT) | instid1(VALU_DEP_3)
	v_fmac_f32_e32 v121, v122, v124
	v_fma_f32 v122, v122, v125, -v116
	s_delay_alu instid0(VALU_DEP_4) | instskip(NEXT) | instid1(VALU_DEP_4)
	v_fmac_f32_e32 v123, v108, v118
	v_fma_f32 v124, v108, v119, -v109
	v_mul_f32_e32 v125, v111, v127
	v_mul_f32_e32 v108, v111, v126
	ds_load_2addr_b64 v[116:119], v160 offset0:108 offset1:171
	v_fmac_f32_e32 v125, v110, v126
	v_fma_f32 v126, v110, v127, -v108
	ds_load_2addr_b64 v[108:111], v140 offset0:116 offset1:179
	s_waitcnt lgkmcnt(1)
	v_mul_f32_e32 v172, v115, v117
	s_waitcnt lgkmcnt(0)
	v_dual_mul_f32 v174, v103, v119 :: v_dual_mul_f32 v127, v113, v109
	s_delay_alu instid0(VALU_DEP_2) | instskip(NEXT) | instid1(VALU_DEP_2)
	v_fmac_f32_e32 v172, v114, v116
	v_dual_fmac_f32 v174, v102, v118 :: v_dual_fmac_f32 v127, v112, v108
	v_mul_f32_e32 v108, v113, v108
	s_delay_alu instid0(VALU_DEP_1) | instskip(SKIP_1) | instid1(VALU_DEP_1)
	v_fma_f32 v171, v112, v109, -v108
	v_mul_f32_e32 v108, v115, v116
	v_fma_f32 v116, v114, v117, -v108
	v_mul_f32_e32 v117, v101, v111
	v_mul_f32_e32 v101, v101, v110
	s_delay_alu instid0(VALU_DEP_2) | instskip(NEXT) | instid1(VALU_DEP_2)
	v_fmac_f32_e32 v117, v100, v110
	v_fma_f32 v173, v100, v111, -v101
	v_mul_f32_e32 v100, v103, v118
	ds_load_2addr_b64 v[108:111], v158 offset0:106 offset1:169
	v_fma_f32 v118, v102, v119, -v100
	ds_load_2addr_b64 v[100:103], v141 offset0:114 offset1:177
	s_waitcnt lgkmcnt(1)
	v_mul_f32_e32 v180, v99, v111
	v_mul_f32_e32 v176, v107, v109
	s_waitcnt lgkmcnt(0)
	v_mul_f32_e32 v178, v97, v103
	v_mul_f32_e32 v97, v97, v102
	v_dual_fmac_f32 v180, v98, v110 :: v_dual_mul_f32 v119, v105, v101
	v_fmac_f32_e32 v176, v106, v108
	s_delay_alu instid0(VALU_DEP_4) | instskip(NEXT) | instid1(VALU_DEP_4)
	v_fmac_f32_e32 v178, v96, v102
	v_fma_f32 v179, v96, v103, -v97
	s_delay_alu instid0(VALU_DEP_4) | instskip(SKIP_1) | instid1(VALU_DEP_2)
	v_dual_mul_f32 v96, v99, v110 :: v_dual_fmac_f32 v119, v104, v100
	v_mul_f32_e32 v100, v105, v100
	v_fma_f32 v181, v98, v111, -v96
	ds_load_2addr_b64 v[96:99], v249 offset1:63
	v_fma_f32 v175, v104, v101, -v100
	v_mul_f32_e32 v100, v107, v108
	s_delay_alu instid0(VALU_DEP_1) | instskip(SKIP_2) | instid1(VALU_DEP_1)
	v_fma_f32 v177, v106, v109, -v100
	s_waitcnt lgkmcnt(0)
	v_add_f32_e32 v100, v97, v162
	v_add_f32_e32 v113, v100, v166
	;; [unrolled: 1-line block ×3, first 2 shown]
	s_delay_alu instid0(VALU_DEP_1) | instskip(SKIP_3) | instid1(VALU_DEP_4)
	v_dual_add_f32 v112, v100, v163 :: v_dual_add_f32 v101, v162, v166
	v_add_f32_e32 v100, v170, v163
	v_sub_f32_e32 v162, v162, v166
	v_sub_f32_e32 v163, v170, v163
	v_fma_f32 v97, -0.5, v101, v97
	s_delay_alu instid0(VALU_DEP_4)
	v_fma_f32 v96, -0.5, v100, v96
	ds_load_2addr_b64 v[100:103], v249 offset0:126 offset1:189
	ds_load_2addr_b64 v[104:107], v159 offset0:124 offset1:187
	;; [unrolled: 1-line block ×3, first 2 shown]
	s_waitcnt lgkmcnt(0)
	s_barrier
	buffer_gl0_inv
	scratch_load_b32 v166, off, off offset:284 ; 4-byte Folded Reload
	v_fmamk_f32 v114, v162, 0xbf5db3d7, v96
	v_fmac_f32_e32 v96, 0x3f5db3d7, v162
	scratch_load_b32 v162, off, off offset:296 ; 4-byte Folded Reload
	v_fmamk_f32 v115, v163, 0x3f5db3d7, v97
	v_fmac_f32_e32 v97, 0xbf5db3d7, v163
	s_waitcnt vmcnt(1)
	ds_store_b64 v166, v[96:97] offset:128
	v_add_f32_e32 v96, v167, v165
	ds_store_2addr_b64 v166, v[112:113], v[114:115] offset1:8
	v_add_f32_e32 v112, v98, v167
	v_dual_sub_f32 v114, v164, v168 :: v_dual_sub_f32 v115, v167, v165
	v_fma_f32 v98, -0.5, v96, v98
	v_add_f32_e32 v96, v99, v164
	v_add_f32_e32 v113, v164, v168
	s_delay_alu instid0(VALU_DEP_2) | instskip(NEXT) | instid1(VALU_DEP_2)
	v_add_f32_e32 v97, v96, v168
	v_fmac_f32_e32 v99, -0.5, v113
	v_add_f32_e32 v96, v112, v165
	v_fmamk_f32 v112, v114, 0xbf5db3d7, v98
	v_fmac_f32_e32 v98, 0x3f5db3d7, v114
	scratch_load_b32 v114, off, off offset:292 ; 4-byte Folded Reload
	v_fmamk_f32 v113, v115, 0x3f5db3d7, v99
	v_fmac_f32_e32 v99, 0xbf5db3d7, v115
	s_waitcnt vmcnt(1)
	ds_store_2addr_b64 v162, v[96:97], v[112:113] offset1:8
	ds_store_b64 v162, v[98:99] offset:128
	v_add_f32_e32 v98, v169, v121
	v_add_f32_e32 v96, v101, v120
	v_sub_f32_e32 v112, v120, v122
	v_add_f32_e32 v99, v120, v122
	v_sub_f32_e32 v113, v169, v121
	v_fma_f32 v98, -0.5, v98, v100
	v_add_f32_e32 v97, v96, v122
	v_add_f32_e32 v96, v100, v169
	v_fma_f32 v99, -0.5, v99, v101
	s_delay_alu instid0(VALU_DEP_4)
	v_fmamk_f32 v100, v112, 0xbf5db3d7, v98
	v_fmac_f32_e32 v98, 0x3f5db3d7, v112
	scratch_load_b32 v112, off, off offset:288 ; 4-byte Folded Reload
	v_dual_add_f32 v96, v96, v121 :: v_dual_fmamk_f32 v101, v113, 0x3f5db3d7, v99
	v_fmac_f32_e32 v99, 0xbf5db3d7, v113
	s_waitcnt vmcnt(1)
	ds_store_2addr_b64 v114, v[96:97], v[100:101] offset1:8
	ds_store_b64 v114, v[98:99] offset:128
	v_dual_add_f32 v96, v123, v125 :: v_dual_add_f32 v99, v124, v126
	v_add_f32_e32 v98, v102, v123
	v_dual_sub_f32 v100, v124, v126 :: v_dual_sub_f32 v101, v123, v125
	s_delay_alu instid0(VALU_DEP_3) | instskip(NEXT) | instid1(VALU_DEP_4)
	v_fma_f32 v102, -0.5, v96, v102
	v_dual_add_f32 v96, v103, v124 :: v_dual_fmac_f32 v103, -0.5, v99
	s_delay_alu instid0(VALU_DEP_1) | instskip(NEXT) | instid1(VALU_DEP_3)
	v_dual_add_f32 v97, v96, v126 :: v_dual_add_f32 v96, v98, v125
	v_fmamk_f32 v98, v100, 0xbf5db3d7, v102
	s_delay_alu instid0(VALU_DEP_3)
	v_dual_fmamk_f32 v99, v101, 0x3f5db3d7, v103 :: v_dual_fmac_f32 v102, 0x3f5db3d7, v100
	v_fmac_f32_e32 v103, 0xbf5db3d7, v101
	s_waitcnt vmcnt(0)
	ds_store_2addr_b64 v112, v[96:97], v[98:99] offset1:8
	v_add_f32_e32 v96, v105, v171
	v_add_f32_e32 v98, v127, v172
	ds_store_b64 v112, v[102:103] offset:128
	v_sub_f32_e32 v102, v171, v116
	v_add_f32_e32 v99, v171, v116
	v_add_f32_e32 v97, v96, v116
	;; [unrolled: 1-line block ×3, first 2 shown]
	v_fma_f32 v98, -0.5, v98, v104
	scratch_load_b32 v104, off, off offset:280 ; 4-byte Folded Reload
	v_fma_f32 v99, -0.5, v99, v105
	v_sub_f32_e32 v103, v127, v172
	v_add_f32_e32 v96, v96, v172
	v_fmamk_f32 v100, v102, 0xbf5db3d7, v98
	v_fmac_f32_e32 v98, 0x3f5db3d7, v102
	scratch_load_b32 v102, off, off offset:276 ; 4-byte Folded Reload
	v_fmamk_f32 v101, v103, 0x3f5db3d7, v99
	v_fmac_f32_e32 v99, 0xbf5db3d7, v103
	v_sub_f32_e32 v103, v119, v176
	s_waitcnt vmcnt(1)
	ds_store_2addr_b64 v104, v[96:97], v[100:101] offset1:8
	ds_store_b64 v104, v[98:99] offset:128
	v_add_f32_e32 v96, v117, v174
	v_dual_add_f32 v99, v173, v118 :: v_dual_add_f32 v98, v106, v117
	v_sub_f32_e32 v100, v173, v118
	v_sub_f32_e32 v101, v117, v174
	s_delay_alu instid0(VALU_DEP_4) | instskip(NEXT) | instid1(VALU_DEP_4)
	v_fma_f32 v106, -0.5, v96, v106
	v_dual_add_f32 v96, v107, v173 :: v_dual_fmac_f32 v107, -0.5, v99
	scratch_load_b32 v104, off, off offset:272 ; 4-byte Folded Reload
	v_add_f32_e32 v97, v96, v118
	v_add_f32_e32 v96, v98, v174
	v_fmamk_f32 v98, v100, 0xbf5db3d7, v106
	v_dual_fmamk_f32 v99, v101, 0x3f5db3d7, v107 :: v_dual_fmac_f32 v106, 0x3f5db3d7, v100
	s_waitcnt vmcnt(1)
	ds_store_2addr_b64 v102, v[96:97], v[98:99] offset1:8
	v_add_f32_e32 v96, v109, v175
	v_add_f32_e32 v98, v119, v176
	;; [unrolled: 1-line block ×3, first 2 shown]
	s_delay_alu instid0(VALU_DEP_3) | instskip(SKIP_1) | instid1(VALU_DEP_4)
	v_add_f32_e32 v97, v96, v177
	v_add_f32_e32 v96, v108, v119
	v_fma_f32 v98, -0.5, v98, v108
	s_delay_alu instid0(VALU_DEP_4) | instskip(NEXT) | instid1(VALU_DEP_3)
	v_fma_f32 v99, -0.5, v99, v109
	v_dual_add_f32 v96, v96, v176 :: v_dual_fmac_f32 v107, 0xbf5db3d7, v101
	s_delay_alu instid0(VALU_DEP_2) | instskip(SKIP_3) | instid1(VALU_DEP_1)
	v_fmamk_f32 v101, v103, 0x3f5db3d7, v99
	v_fmac_f32_e32 v99, 0xbf5db3d7, v103
	ds_store_b64 v102, v[106:107] offset:128
	v_sub_f32_e32 v102, v175, v177
	v_fmamk_f32 v100, v102, 0xbf5db3d7, v98
	v_fmac_f32_e32 v98, 0x3f5db3d7, v102
	scratch_load_b32 v102, off, off offset:268 ; 4-byte Folded Reload
	s_waitcnt vmcnt(1)
	ds_store_2addr_b64 v104, v[96:97], v[100:101] offset1:8
	v_add_f32_e32 v96, v178, v180
	ds_store_b64 v104, v[98:99] offset:128
	v_dual_add_f32 v98, v110, v178 :: v_dual_add_f32 v97, v111, v179
	v_sub_f32_e32 v100, v179, v181
	v_fma_f32 v110, -0.5, v96, v110
	v_dual_add_f32 v96, v179, v181 :: v_dual_sub_f32 v101, v178, v180
	s_delay_alu instid0(VALU_DEP_4) | instskip(NEXT) | instid1(VALU_DEP_2)
	v_add_f32_e32 v97, v97, v181
	v_fmac_f32_e32 v111, -0.5, v96
	v_add_f32_e32 v96, v98, v180
	v_fmamk_f32 v98, v100, 0xbf5db3d7, v110
	s_delay_alu instid0(VALU_DEP_3)
	v_dual_fmac_f32 v110, 0x3f5db3d7, v100 :: v_dual_fmamk_f32 v99, v101, 0x3f5db3d7, v111
	v_fmac_f32_e32 v111, 0xbf5db3d7, v101
	s_waitcnt vmcnt(0)
	ds_store_2addr_b64 v102, v[96:97], v[98:99] offset1:8
	ds_store_b64 v102, v[110:111] offset:128
	s_waitcnt lgkmcnt(0)
	s_barrier
	buffer_gl0_inv
	ds_load_2addr_b64 v[96:99], v161 offset0:120 offset1:183
	ds_load_2addr_b64 v[100:103], v156 offset0:112 offset1:175
	s_waitcnt lgkmcnt(1)
	v_mul_f32_e32 v104, v65, v97
	v_mul_f32_e32 v65, v65, v96
	s_delay_alu instid0(VALU_DEP_2) | instskip(NEXT) | instid1(VALU_DEP_2)
	v_fmac_f32_e32 v104, v64, v96
	v_fma_f32 v96, v64, v97, -v65
	s_waitcnt lgkmcnt(0)
	v_mul_f32_e32 v97, v67, v101
	v_mul_f32_e32 v64, v67, v100
	s_delay_alu instid0(VALU_DEP_2) | instskip(NEXT) | instid1(VALU_DEP_2)
	v_fmac_f32_e32 v97, v66, v100
	v_fma_f32 v100, v66, v101, -v64
	ds_load_2addr_b64 v[64:67], v155 offset0:110 offset1:173
	v_mul_f32_e32 v101, v45, v99
	v_mul_f32_e32 v45, v45, v98
	s_delay_alu instid0(VALU_DEP_2) | instskip(NEXT) | instid1(VALU_DEP_2)
	v_fmac_f32_e32 v101, v44, v98
	v_fma_f32 v98, v44, v99, -v45
	v_mul_f32_e32 v44, v47, v102
	s_waitcnt lgkmcnt(0)
	v_mul_f32_e32 v108, v35, v67
	v_mul_f32_e32 v99, v47, v103
	;; [unrolled: 1-line block ×3, first 2 shown]
	s_delay_alu instid0(VALU_DEP_3) | instskip(NEXT) | instid1(VALU_DEP_3)
	v_fmac_f32_e32 v108, v34, v66
	v_fmac_f32_e32 v99, v46, v102
	v_fma_f32 v102, v46, v103, -v44
	ds_load_2addr_b64 v[44:47], v157 offset0:118 offset1:181
	s_waitcnt lgkmcnt(0)
	v_dual_fmac_f32 v106, v50, v64 :: v_dual_mul_f32 v103, v49, v45
	s_delay_alu instid0(VALU_DEP_1) | instskip(SKIP_1) | instid1(VALU_DEP_1)
	v_fmac_f32_e32 v103, v48, v44
	v_mul_f32_e32 v44, v49, v44
	v_fma_f32 v105, v48, v45, -v44
	v_mul_f32_e32 v44, v51, v64
	s_delay_alu instid0(VALU_DEP_1) | instskip(SKIP_2) | instid1(VALU_DEP_2)
	v_fma_f32 v64, v50, v65, -v44
	v_mul_f32_e32 v65, v33, v47
	v_mul_f32_e32 v33, v33, v46
	v_fmac_f32_e32 v65, v32, v46
	s_delay_alu instid0(VALU_DEP_2)
	v_fma_f32 v107, v32, v47, -v33
	v_mul_f32_e32 v32, v35, v66
	ds_load_2addr_b64 v[44:47], v160 offset0:108 offset1:171
	v_fma_f32 v66, v34, v67, -v32
	ds_load_2addr_b64 v[32:35], v140 offset0:116 offset1:179
	s_waitcnt lgkmcnt(0)
	v_dual_mul_f32 v110, v39, v47 :: v_dual_mul_f32 v67, v53, v33
	s_delay_alu instid0(VALU_DEP_1) | instskip(SKIP_1) | instid1(VALU_DEP_1)
	v_dual_fmac_f32 v110, v38, v46 :: v_dual_fmac_f32 v67, v52, v32
	v_dual_mul_f32 v32, v53, v32 :: v_dual_mul_f32 v53, v55, v45
	v_fma_f32 v52, v52, v33, -v32
	v_mul_f32_e32 v32, v55, v44
	s_delay_alu instid0(VALU_DEP_3) | instskip(SKIP_1) | instid1(VALU_DEP_3)
	v_fmac_f32_e32 v53, v54, v44
	v_mul_f32_e32 v55, v37, v35
	v_fma_f32 v54, v54, v45, -v32
	v_mul_f32_e32 v32, v37, v34
	s_delay_alu instid0(VALU_DEP_3) | instskip(NEXT) | instid1(VALU_DEP_2)
	v_fmac_f32_e32 v55, v36, v34
	v_fma_f32 v109, v36, v35, -v32
	v_mul_f32_e32 v32, v39, v46
	s_delay_alu instid0(VALU_DEP_1)
	v_fma_f32 v111, v38, v47, -v32
	ds_load_2addr_b64 v[32:35], v141 offset0:114 offset1:177
	ds_load_2addr_b64 v[36:39], v158 offset0:106 offset1:169
	s_waitcnt lgkmcnt(1)
	v_mul_f32_e32 v112, v57, v33
	s_waitcnt lgkmcnt(0)
	v_mul_f32_e32 v114, v43, v39
	s_delay_alu instid0(VALU_DEP_2) | instskip(SKIP_1) | instid1(VALU_DEP_3)
	v_fmac_f32_e32 v112, v56, v32
	v_dual_mul_f32 v32, v57, v32 :: v_dual_mul_f32 v57, v59, v37
	v_fmac_f32_e32 v114, v42, v38
	s_delay_alu instid0(VALU_DEP_2) | instskip(SKIP_1) | instid1(VALU_DEP_4)
	v_fma_f32 v56, v56, v33, -v32
	v_mul_f32_e32 v32, v59, v36
	v_fmac_f32_e32 v57, v58, v36
	v_mul_f32_e32 v59, v41, v35
	s_delay_alu instid0(VALU_DEP_3) | instskip(SKIP_1) | instid1(VALU_DEP_3)
	v_fma_f32 v58, v58, v37, -v32
	v_mul_f32_e32 v32, v41, v34
	v_fmac_f32_e32 v59, v40, v34
	v_add_f32_e32 v37, v96, v100
	s_delay_alu instid0(VALU_DEP_3) | instskip(SKIP_1) | instid1(VALU_DEP_1)
	v_fma_f32 v113, v40, v35, -v32
	v_mul_f32_e32 v32, v43, v38
	v_fma_f32 v115, v42, v39, -v32
	ds_load_2addr_b64 v[32:35], v249 offset1:63
	s_waitcnt lgkmcnt(0)
	v_add_f32_e32 v36, v33, v96
	v_fma_f32 v33, -0.5, v37, v33
	v_sub_f32_e32 v96, v96, v100
	s_delay_alu instid0(VALU_DEP_3) | instskip(SKIP_1) | instid1(VALU_DEP_1)
	v_add_f32_e32 v49, v36, v100
	v_add_f32_e32 v36, v32, v104
	;; [unrolled: 1-line block ×4, first 2 shown]
	v_sub_f32_e32 v97, v104, v97
	s_delay_alu instid0(VALU_DEP_2)
	v_fma_f32 v32, -0.5, v36, v32
	ds_load_2addr_b64 v[36:39], v249 offset0:126 offset1:189
	ds_load_2addr_b64 v[40:43], v159 offset0:124 offset1:187
	;; [unrolled: 1-line block ×3, first 2 shown]
	s_waitcnt lgkmcnt(0)
	s_barrier
	buffer_gl0_inv
	scratch_load_b32 v100, off, off offset:228 ; 4-byte Folded Reload
	v_fmamk_f32 v50, v96, 0xbf5db3d7, v32
	v_fmac_f32_e32 v32, 0x3f5db3d7, v96
	scratch_load_b32 v96, off, off offset:244 ; 4-byte Folded Reload
	v_fmamk_f32 v51, v97, 0x3f5db3d7, v33
	v_fmac_f32_e32 v33, 0xbf5db3d7, v97
	s_waitcnt vmcnt(1)
	ds_store_2addr_b64 v100, v[48:49], v[50:51] offset1:24
	ds_store_b64 v100, v[32:33] offset:384
	v_dual_add_f32 v32, v101, v99 :: v_dual_add_f32 v49, v98, v102
	v_add_f32_e32 v48, v34, v101
	v_dual_sub_f32 v50, v98, v102 :: v_dual_sub_f32 v51, v101, v99
	s_delay_alu instid0(VALU_DEP_3) | instskip(NEXT) | instid1(VALU_DEP_4)
	v_fma_f32 v34, -0.5, v32, v34
	v_dual_add_f32 v32, v35, v98 :: v_dual_fmac_f32 v35, -0.5, v49
	s_delay_alu instid0(VALU_DEP_1) | instskip(NEXT) | instid1(VALU_DEP_2)
	v_add_f32_e32 v33, v32, v102
	v_dual_add_f32 v32, v48, v99 :: v_dual_fmamk_f32 v49, v51, 0x3f5db3d7, v35
	s_delay_alu instid0(VALU_DEP_4)
	v_fmamk_f32 v48, v50, 0xbf5db3d7, v34
	v_fmac_f32_e32 v34, 0x3f5db3d7, v50
	v_fmac_f32_e32 v35, 0xbf5db3d7, v51
	scratch_load_b32 v50, off, off offset:232 ; 4-byte Folded Reload
	s_waitcnt vmcnt(1)
	ds_store_2addr_b64 v96, v[32:33], v[48:49] offset1:24
	v_add_f32_e32 v32, v37, v105
	ds_store_b64 v96, v[34:35] offset:384
	v_dual_add_f32 v34, v103, v106 :: v_dual_add_f32 v35, v105, v64
	v_dual_sub_f32 v48, v105, v64 :: v_dual_sub_f32 v49, v103, v106
	v_add_f32_e32 v33, v32, v64
	s_delay_alu instid0(VALU_DEP_3) | instskip(NEXT) | instid1(VALU_DEP_4)
	v_fma_f32 v34, -0.5, v34, v36
	v_fma_f32 v35, -0.5, v35, v37
	v_add_f32_e32 v32, v36, v103
	s_delay_alu instid0(VALU_DEP_3)
	v_fmamk_f32 v36, v48, 0xbf5db3d7, v34
	v_fmac_f32_e32 v34, 0x3f5db3d7, v48
	scratch_load_b32 v48, off, off offset:224 ; 4-byte Folded Reload
	v_dual_fmamk_f32 v37, v49, 0x3f5db3d7, v35 :: v_dual_add_f32 v32, v32, v106
	v_fmac_f32_e32 v35, 0xbf5db3d7, v49
	s_waitcnt vmcnt(1)
	ds_store_b64 v50, v[34:35] offset:384
	v_add_f32_e32 v35, v107, v66
	ds_store_2addr_b64 v50, v[32:33], v[36:37] offset1:24
	v_add_f32_e32 v32, v65, v108
	v_dual_add_f32 v34, v38, v65 :: v_dual_sub_f32 v37, v65, v108
	s_delay_alu instid0(VALU_DEP_2) | instskip(SKIP_2) | instid1(VALU_DEP_1)
	v_fma_f32 v38, -0.5, v32, v38
	v_add_f32_e32 v32, v39, v107
	v_dual_fmac_f32 v39, -0.5, v35 :: v_dual_sub_f32 v36, v107, v66
	v_fmamk_f32 v35, v37, 0x3f5db3d7, v39
	v_fmac_f32_e32 v39, 0xbf5db3d7, v37
	s_delay_alu instid0(VALU_DEP_4) | instskip(NEXT) | instid1(VALU_DEP_4)
	v_dual_add_f32 v33, v32, v66 :: v_dual_add_f32 v32, v34, v108
	v_fmamk_f32 v34, v36, 0xbf5db3d7, v38
	v_fmac_f32_e32 v38, 0x3f5db3d7, v36
	s_waitcnt vmcnt(0)
	ds_store_b64 v48, v[38:39] offset:384
	v_sub_f32_e32 v39, v67, v53
	ds_store_2addr_b64 v48, v[32:33], v[34:35] offset1:24
	v_dual_add_f32 v35, v52, v54 :: v_dual_add_f32 v34, v67, v53
	s_delay_alu instid0(VALU_DEP_1) | instskip(SKIP_1) | instid1(VALU_DEP_3)
	v_fma_f32 v35, -0.5, v35, v41
	v_add_f32_e32 v32, v41, v52
	v_fma_f32 v34, -0.5, v34, v40
	s_delay_alu instid0(VALU_DEP_3) | instskip(SKIP_1) | instid1(VALU_DEP_4)
	v_dual_sub_f32 v38, v52, v54 :: v_dual_fmamk_f32 v37, v39, 0x3f5db3d7, v35
	v_fmac_f32_e32 v35, 0xbf5db3d7, v39
	v_add_f32_e32 v33, v32, v54
	v_add_f32_e32 v32, v40, v67
	scratch_load_b32 v40, off, off offset:220 ; 4-byte Folded Reload
	v_fmamk_f32 v36, v38, 0xbf5db3d7, v34
	v_fmac_f32_e32 v34, 0x3f5db3d7, v38
	scratch_load_b32 v38, off, off offset:216 ; 4-byte Folded Reload
	v_add_f32_e32 v32, v32, v53
	v_sub_f32_e32 v39, v112, v57
	s_waitcnt vmcnt(1)
	ds_store_b64 v40, v[34:35] offset:384
	v_add_f32_e32 v35, v109, v111
	ds_store_2addr_b64 v40, v[32:33], v[36:37] offset1:24
	v_sub_f32_e32 v37, v55, v110
	v_add_f32_e32 v32, v55, v110
	v_add_f32_e32 v34, v42, v55
	v_sub_f32_e32 v36, v109, v111
	scratch_load_b32 v40, off, off offset:212 ; 4-byte Folded Reload
	v_fma_f32 v42, -0.5, v32, v42
	v_dual_add_f32 v32, v43, v109 :: v_dual_fmac_f32 v43, -0.5, v35
	s_delay_alu instid0(VALU_DEP_1) | instskip(NEXT) | instid1(VALU_DEP_3)
	v_dual_add_f32 v33, v32, v111 :: v_dual_add_f32 v32, v34, v110
	v_fmamk_f32 v34, v36, 0xbf5db3d7, v42
	s_delay_alu instid0(VALU_DEP_3)
	v_fmamk_f32 v35, v37, 0x3f5db3d7, v43
	v_fmac_f32_e32 v43, 0xbf5db3d7, v37
	s_waitcnt vmcnt(1)
	ds_store_2addr_b64 v38, v[32:33], v[34:35] offset1:24
	v_add_f32_e32 v32, v45, v56
	v_add_f32_e32 v34, v112, v57
	;; [unrolled: 1-line block ×3, first 2 shown]
	s_delay_alu instid0(VALU_DEP_3) | instskip(NEXT) | instid1(VALU_DEP_3)
	v_dual_add_f32 v33, v32, v58 :: v_dual_fmac_f32 v42, 0x3f5db3d7, v36
	v_fma_f32 v34, -0.5, v34, v44
	v_add_f32_e32 v32, v44, v112
	s_delay_alu instid0(VALU_DEP_4) | instskip(SKIP_3) | instid1(VALU_DEP_2)
	v_fma_f32 v35, -0.5, v35, v45
	ds_store_b64 v38, v[42:43] offset:384
	v_sub_f32_e32 v38, v56, v58
	v_add_f32_e32 v32, v32, v57
	v_fmamk_f32 v36, v38, 0xbf5db3d7, v34
	v_fmac_f32_e32 v34, 0x3f5db3d7, v38
	scratch_load_b32 v38, off, off offset:208 ; 4-byte Folded Reload
	v_fmamk_f32 v37, v39, 0x3f5db3d7, v35
	v_fmac_f32_e32 v35, 0xbf5db3d7, v39
	s_waitcnt vmcnt(1)
	ds_store_2addr_b64 v40, v[32:33], v[36:37] offset1:24
	v_sub_f32_e32 v37, v59, v114
	v_add_f32_e32 v32, v59, v114
	ds_store_b64 v40, v[34:35] offset:384
	v_dual_add_f32 v34, v46, v59 :: v_dual_add_f32 v33, v47, v113
	v_sub_f32_e32 v36, v113, v115
	v_fma_f32 v46, -0.5, v32, v46
	v_add_f32_e32 v32, v113, v115
	s_delay_alu instid0(VALU_DEP_4) | instskip(NEXT) | instid1(VALU_DEP_2)
	v_add_f32_e32 v33, v33, v115
	v_dual_fmac_f32 v47, -0.5, v32 :: v_dual_add_f32 v32, v34, v114
	s_delay_alu instid0(VALU_DEP_4) | instskip(NEXT) | instid1(VALU_DEP_2)
	v_fmamk_f32 v34, v36, 0xbf5db3d7, v46
	v_dual_fmac_f32 v46, 0x3f5db3d7, v36 :: v_dual_fmamk_f32 v35, v37, 0x3f5db3d7, v47
	v_fmac_f32_e32 v47, 0xbf5db3d7, v37
	s_waitcnt vmcnt(0)
	ds_store_2addr_b64 v38, v[32:33], v[34:35] offset1:24
	ds_store_b64 v38, v[46:47] offset:384
	s_waitcnt lgkmcnt(0)
	s_barrier
	buffer_gl0_inv
	ds_load_2addr_b64 v[32:35], v161 offset0:120 offset1:183
	ds_load_2addr_b64 v[36:39], v156 offset0:112 offset1:175
	s_waitcnt lgkmcnt(1)
	v_mul_f32_e32 v40, v9, v33
	v_mul_f32_e32 v9, v9, v32
	s_delay_alu instid0(VALU_DEP_2) | instskip(NEXT) | instid1(VALU_DEP_2)
	v_fmac_f32_e32 v40, v8, v32
	v_fma_f32 v32, v8, v33, -v9
	s_waitcnt lgkmcnt(0)
	v_mul_f32_e32 v33, v11, v37
	v_mul_f32_e32 v8, v11, v36
	s_delay_alu instid0(VALU_DEP_2) | instskip(NEXT) | instid1(VALU_DEP_2)
	v_fmac_f32_e32 v33, v10, v36
	v_fma_f32 v36, v10, v37, -v8
	v_mul_f32_e32 v37, v5, v35
	v_mul_f32_e32 v5, v5, v34
	ds_load_2addr_b64 v[8:11], v155 offset0:110 offset1:173
	v_fmac_f32_e32 v37, v4, v34
	v_fma_f32 v34, v4, v35, -v5
	v_mul_f32_e32 v35, v7, v39
	v_mul_f32_e32 v4, v7, v38
	s_delay_alu instid0(VALU_DEP_2) | instskip(NEXT) | instid1(VALU_DEP_2)
	v_fmac_f32_e32 v35, v6, v38
	v_fma_f32 v38, v6, v39, -v4
	ds_load_2addr_b64 v[4:7], v157 offset0:118 offset1:181
	s_waitcnt lgkmcnt(1)
	v_mul_f32_e32 v42, v3, v9
	s_waitcnt lgkmcnt(0)
	s_delay_alu instid0(VALU_DEP_1) | instskip(SKIP_1) | instid1(VALU_DEP_2)
	v_dual_fmac_f32 v42, v2, v8 :: v_dual_mul_f32 v39, v1, v5
	v_mul_f32_e32 v1, v1, v4
	v_dual_mul_f32 v44, v17, v7 :: v_dual_fmac_f32 v39, v0, v4
	s_delay_alu instid0(VALU_DEP_2) | instskip(SKIP_1) | instid1(VALU_DEP_3)
	v_fma_f32 v41, v0, v5, -v1
	v_mul_f32_e32 v0, v3, v8
	v_fmac_f32_e32 v44, v16, v6
	s_delay_alu instid0(VALU_DEP_2) | instskip(SKIP_1) | instid1(VALU_DEP_1)
	v_fma_f32 v43, v2, v9, -v0
	v_mul_f32_e32 v0, v17, v6
	v_fma_f32 v45, v16, v7, -v0
	v_mul_f32_e32 v0, v19, v10
	ds_load_2addr_b64 v[4:7], v160 offset0:108 offset1:171
	v_fma_f32 v47, v18, v11, -v0
	ds_load_2addr_b64 v[0:3], v140 offset0:116 offset1:179
	s_waitcnt lgkmcnt(1)
	v_mul_f32_e32 v50, v15, v5
	s_waitcnt lgkmcnt(0)
	v_mul_f32_e32 v48, v13, v1
	v_mul_f32_e32 v52, v29, v3
	s_delay_alu instid0(VALU_DEP_3) | instskip(NEXT) | instid1(VALU_DEP_3)
	v_fmac_f32_e32 v50, v14, v4
	v_fmac_f32_e32 v48, v12, v0
	v_mul_f32_e32 v0, v13, v0
	s_delay_alu instid0(VALU_DEP_4) | instskip(NEXT) | instid1(VALU_DEP_2)
	v_fmac_f32_e32 v52, v28, v2
	v_fma_f32 v49, v12, v1, -v0
	v_mul_f32_e32 v0, v15, v4
	s_delay_alu instid0(VALU_DEP_1) | instskip(SKIP_1) | instid1(VALU_DEP_1)
	v_fma_f32 v51, v14, v5, -v0
	v_dual_mul_f32 v0, v29, v2 :: v_dual_mul_f32 v29, v31, v7
	v_fma_f32 v28, v28, v3, -v0
	v_mul_f32_e32 v0, v31, v6
	s_delay_alu instid0(VALU_DEP_3) | instskip(NEXT) | instid1(VALU_DEP_2)
	v_fmac_f32_e32 v29, v30, v6
	v_fma_f32 v30, v30, v7, -v0
	ds_load_2addr_b64 v[0:3], v141 offset0:114 offset1:177
	ds_load_2addr_b64 v[4:7], v158 offset0:106 offset1:169
	s_waitcnt lgkmcnt(1)
	v_mul_f32_e32 v31, v21, v1
	s_delay_alu instid0(VALU_DEP_1) | instskip(SKIP_2) | instid1(VALU_DEP_1)
	v_fmac_f32_e32 v31, v20, v0
	s_waitcnt lgkmcnt(0)
	v_dual_mul_f32 v0, v21, v0 :: v_dual_mul_f32 v21, v23, v5
	v_fma_f32 v20, v20, v1, -v0
	v_mul_f32_e32 v0, v23, v4
	s_delay_alu instid0(VALU_DEP_3) | instskip(SKIP_2) | instid1(VALU_DEP_4)
	v_fmac_f32_e32 v21, v22, v4
	v_mul_f32_e32 v23, v25, v3
	v_dual_mul_f32 v46, v19, v11 :: v_dual_add_f32 v1, v32, v36
	v_fma_f32 v22, v22, v5, -v0
	v_mul_f32_e32 v0, v25, v2
	s_delay_alu instid0(VALU_DEP_4) | instskip(NEXT) | instid1(VALU_DEP_4)
	v_fmac_f32_e32 v23, v24, v2
	v_dual_mul_f32 v25, v27, v7 :: v_dual_fmac_f32 v46, v18, v10
	s_delay_alu instid0(VALU_DEP_3) | instskip(SKIP_4) | instid1(VALU_DEP_3)
	v_fma_f32 v24, v24, v3, -v0
	ds_load_2addr_b64 v[2:5], v249 offset1:63
	v_mul_f32_e32 v0, v27, v6
	v_fmac_f32_e32 v25, v26, v6
	v_sub_f32_e32 v27, v32, v36
	v_fma_f32 v26, v26, v7, -v0
	s_waitcnt lgkmcnt(0)
	v_add_f32_e32 v0, v3, v32
	v_fma_f32 v17, -0.5, v1, v3
	v_sub_f32_e32 v32, v40, v33
	s_delay_alu instid0(VALU_DEP_3) | instskip(NEXT) | instid1(VALU_DEP_2)
	v_add_f32_e32 v15, v0, v36
	v_dual_add_f32 v0, v2, v40 :: v_dual_fmamk_f32 v19, v32, 0x3f5db3d7, v17
	s_delay_alu instid0(VALU_DEP_1) | instskip(SKIP_1) | instid1(VALU_DEP_1)
	v_dual_fmac_f32 v17, 0xbf5db3d7, v32 :: v_dual_add_f32 v14, v0, v33
	v_add_f32_e32 v0, v40, v33
	v_fma_f32 v16, -0.5, v0, v2
	ds_load_2addr_b64 v[6:9], v159 offset0:124 offset1:187
	ds_load_2addr_b64 v[10:13], v249 offset0:126 offset1:189
	;; [unrolled: 1-line block ×3, first 2 shown]
	s_waitcnt lgkmcnt(0)
	s_barrier
	buffer_gl0_inv
	v_fmamk_f32 v18, v27, 0xbf5db3d7, v16
	v_fmac_f32_e32 v16, 0x3f5db3d7, v27
	scratch_load_b32 v27, off, off offset:252 ; 4-byte Folded Reload
	ds_store_2addr_b64 v249, v[14:15], v[18:19] offset1:72
	ds_store_b64 v249, v[16:17] offset:1152
	v_dual_add_f32 v14, v37, v35 :: v_dual_add_f32 v17, v34, v38
	v_add_f32_e32 v16, v4, v37
	v_dual_sub_f32 v18, v34, v38 :: v_dual_sub_f32 v19, v37, v35
	s_delay_alu instid0(VALU_DEP_3) | instskip(NEXT) | instid1(VALU_DEP_4)
	v_fma_f32 v4, -0.5, v14, v4
	v_dual_add_f32 v14, v5, v34 :: v_dual_fmac_f32 v5, -0.5, v17
	s_delay_alu instid0(VALU_DEP_1) | instskip(NEXT) | instid1(VALU_DEP_3)
	v_dual_add_f32 v15, v14, v38 :: v_dual_add_f32 v14, v16, v35
	v_fmamk_f32 v16, v18, 0xbf5db3d7, v4
	s_delay_alu instid0(VALU_DEP_3)
	v_dual_fmamk_f32 v17, v19, 0x3f5db3d7, v5 :: v_dual_fmac_f32 v4, 0x3f5db3d7, v18
	v_fmac_f32_e32 v5, 0xbf5db3d7, v19
	scratch_load_b32 v18, off, off offset:256 ; 4-byte Folded Reload
	v_sub_f32_e32 v19, v20, v22
	s_waitcnt vmcnt(1)
	ds_store_2addr_b64 v27, v[14:15], v[16:17] offset1:72
	ds_store_b64 v27, v[4:5] offset:1152
	v_add_f32_e32 v4, v11, v41
	v_dual_add_f32 v15, v39, v42 :: v_dual_add_f32 v14, v41, v43
	v_dual_sub_f32 v16, v41, v43 :: v_dual_sub_f32 v17, v39, v42
	s_delay_alu instid0(VALU_DEP_3) | instskip(SKIP_1) | instid1(VALU_DEP_4)
	v_add_f32_e32 v5, v4, v43
	v_add_f32_e32 v4, v10, v39
	v_fma_f32 v10, -0.5, v15, v10
	v_fma_f32 v11, -0.5, v14, v11
	s_delay_alu instid0(VALU_DEP_3) | instskip(NEXT) | instid1(VALU_DEP_3)
	v_add_f32_e32 v4, v4, v42
	v_fmamk_f32 v14, v16, 0xbf5db3d7, v10
	v_fmac_f32_e32 v10, 0x3f5db3d7, v16
	s_clause 0x1
	scratch_load_b32 v16, off, off offset:260
	scratch_load_b32 v27, off, off offset:236
	v_fmamk_f32 v15, v17, 0x3f5db3d7, v11
	v_fmac_f32_e32 v11, 0xbf5db3d7, v17
	s_waitcnt vmcnt(2)
	ds_store_2addr_b64 v18, v[4:5], v[14:15] offset1:72
	ds_store_b64 v18, v[10:11] offset:1152
	v_dual_add_f32 v4, v44, v46 :: v_dual_add_f32 v11, v45, v47
	v_add_f32_e32 v10, v12, v44
	v_dual_sub_f32 v14, v45, v47 :: v_dual_sub_f32 v15, v44, v46
	s_delay_alu instid0(VALU_DEP_3) | instskip(NEXT) | instid1(VALU_DEP_4)
	v_fma_f32 v12, -0.5, v4, v12
	v_dual_add_f32 v4, v13, v45 :: v_dual_fmac_f32 v13, -0.5, v11
	s_delay_alu instid0(VALU_DEP_1) | instskip(NEXT) | instid1(VALU_DEP_3)
	v_dual_add_f32 v5, v4, v47 :: v_dual_add_f32 v4, v10, v46
	v_fmamk_f32 v10, v14, 0xbf5db3d7, v12
	s_delay_alu instid0(VALU_DEP_3)
	v_dual_fmamk_f32 v11, v15, 0x3f5db3d7, v13 :: v_dual_fmac_f32 v12, 0x3f5db3d7, v14
	v_dual_fmac_f32 v13, 0xbf5db3d7, v15 :: v_dual_add_f32 v14, v6, v48
	v_sub_f32_e32 v15, v48, v50
	s_waitcnt vmcnt(1)
	ds_store_2addr_b64 v16, v[4:5], v[10:11] offset1:72
	v_dual_add_f32 v4, v48, v50 :: v_dual_add_f32 v5, v49, v51
	ds_store_b64 v16, v[12:13] offset:1152
	v_dual_add_f32 v12, v7, v49 :: v_dual_sub_f32 v13, v49, v51
	v_fma_f32 v10, -0.5, v4, v6
	v_fma_f32 v11, -0.5, v5, v7
	s_delay_alu instid0(VALU_DEP_3) | instskip(NEXT) | instid1(VALU_DEP_3)
	v_dual_add_f32 v4, v14, v50 :: v_dual_add_f32 v5, v12, v51
	v_fmamk_f32 v6, v13, 0xbf5db3d7, v10
	s_delay_alu instid0(VALU_DEP_3)
	v_dual_fmamk_f32 v7, v15, 0x3f5db3d7, v11 :: v_dual_fmac_f32 v10, 0x3f5db3d7, v13
	v_fmac_f32_e32 v11, 0xbf5db3d7, v15
	s_waitcnt vmcnt(0)
	ds_store_2addr_b64 v27, v[4:5], v[6:7] offset1:72
	v_add_f32_e32 v4, v52, v29
	v_add_f32_e32 v5, v28, v30
	v_add_f32_e32 v6, v8, v52
	v_sub_f32_e32 v7, v28, v30
	ds_store_b64 v27, v[10:11] offset:1152
	v_fma_f32 v8, -0.5, v4, v8
	v_dual_add_f32 v4, v9, v28 :: v_dual_fmac_f32 v9, -0.5, v5
	v_sub_f32_e32 v5, v52, v29
	v_add_f32_e32 v12, v6, v29
	s_delay_alu instid0(VALU_DEP_3)
	v_dual_add_f32 v6, v31, v21 :: v_dual_add_f32 v13, v4, v30
	v_add_f32_e32 v4, v1, v20
	v_fmamk_f32 v14, v7, 0xbf5db3d7, v8
	v_dual_fmac_f32 v8, 0x3f5db3d7, v7 :: v_dual_fmamk_f32 v15, v5, 0x3f5db3d7, v9
	v_fmac_f32_e32 v9, 0xbf5db3d7, v5
	v_add_f32_e32 v5, v0, v31
	v_add_f32_e32 v7, v20, v22
	v_fma_f32 v0, -0.5, v6, v0
	v_dual_add_f32 v17, v4, v22 :: v_dual_add_f32 v4, v23, v25
	v_sub_f32_e32 v6, v31, v21
	s_delay_alu instid0(VALU_DEP_4) | instskip(NEXT) | instid1(VALU_DEP_4)
	v_fma_f32 v1, -0.5, v7, v1
	v_fmamk_f32 v18, v19, 0xbf5db3d7, v0
	v_fmac_f32_e32 v0, 0x3f5db3d7, v19
	v_add_f32_e32 v19, v2, v23
	v_fma_f32 v2, -0.5, v4, v2
	v_sub_f32_e32 v20, v24, v26
	scratch_load_b32 v11, off, off offset:240 ; 4-byte Folded Reload
	v_add_f32_e32 v16, v5, v21
	v_dual_add_f32 v4, v19, v25 :: v_dual_fmamk_f32 v19, v6, 0x3f5db3d7, v1
	v_dual_fmac_f32 v1, 0xbf5db3d7, v6 :: v_dual_fmamk_f32 v6, v20, 0xbf5db3d7, v2
	v_fmac_f32_e32 v2, 0x3f5db3d7, v20
	scratch_load_b32 v20, off, off offset:264 ; 4-byte Folded Reload
	v_add_f32_e32 v5, v24, v26
	v_add_f32_e32 v7, v3, v24
	v_sub_f32_e32 v21, v23, v25
	s_waitcnt vmcnt(1)
	ds_store_2addr_b64 v11, v[12:13], v[14:15] offset1:72
	ds_store_b64 v11, v[8:9] offset:1152
	scratch_load_b32 v8, off, off offset:248 ; 4-byte Folded Reload
	v_fmac_f32_e32 v3, -0.5, v5
	v_add_f32_e32 v5, v7, v26
	s_delay_alu instid0(VALU_DEP_2)
	v_fmamk_f32 v7, v21, 0x3f5db3d7, v3
	s_waitcnt vmcnt(1)
	v_add_nc_u32_e32 v10, 0x2800, v20
	v_fmac_f32_e32 v3, 0xbf5db3d7, v21
	s_waitcnt vmcnt(0)
	ds_store_2addr_b64 v8, v[16:17], v[18:19] offset1:72
	ds_store_b64 v8, v[0:1] offset:1152
	ds_store_2addr_b64 v10, v[4:5], v[6:7] offset0:16 offset1:88
	ds_store_b64 v20, v[2:3] offset:11520
	s_waitcnt lgkmcnt(0)
	s_barrier
	buffer_gl0_inv
	ds_load_2addr_b64 v[12:15], v249 offset1:63
	ds_load_2addr_b64 v[20:23], v157 offset0:46 offset1:136
	ds_load_2addr_b64 v[36:39], v141 offset0:96 offset1:159
	ds_load_2addr_b64 v[16:19], v156 offset0:94 offset1:184
	ds_load_2addr_b64 v[32:35], v158 offset0:16 offset1:79
	ds_load_2addr_b64 v[28:31], v140 offset0:71 offset1:134
	ds_load_b64 v[0:1], v249 offset:11376
	ds_load_2addr_b64 v[8:11], v249 offset0:126 offset1:216
	ds_load_2addr_b64 v[44:47], v154 offset0:176 offset1:239
	;; [unrolled: 1-line block ×4, first 2 shown]
	s_and_saveexec_b32 s0, vcc_lo
	s_cbranch_execz .LBB0_7
; %bb.6:
	v_add_nc_u32_e32 v2, 0x1300, v249
	ds_load_2addr_b64 v[140:143], v2 offset0:13 offset1:229
	v_add_nc_u32_e32 v2, 0x500, v249
	ds_load_2addr_b64 v[144:147], v155 offset0:29 offset1:245
	ds_load_b64 v[152:153], v249 offset:11880
	ds_load_2addr_b64 v[4:7], v2 offset0:29 offset1:245
	s_waitcnt lgkmcnt(3)
	v_dual_mov_b32 v3, v141 :: v_dual_mov_b32 v2, v140
.LBB0_7:
	s_or_b32 exec_lo, exec_lo, s0
	s_waitcnt lgkmcnt(2)
	v_dual_mul_f32 v48, v89, v11 :: v_dual_mul_f32 v51, v91, v44
	v_dual_mul_f32 v49, v89, v10 :: v_dual_mul_f32 v50, v91, v45
	v_mul_f32_e32 v52, v81, v23
	s_delay_alu instid0(VALU_DEP_3) | instskip(SKIP_1) | instid1(VALU_DEP_4)
	v_fmac_f32_e32 v48, v88, v10
	v_mul_f32_e32 v10, v81, v22
	v_fma_f32 v11, v88, v11, -v49
	v_dual_fmac_f32 v50, v90, v44 :: v_dual_mul_f32 v49, v93, v18
	v_fma_f32 v44, v90, v45, -v51
	v_mul_f32_e32 v45, v93, v19
	v_mul_f32_e32 v51, v95, v33
	v_fma_f32 v10, v80, v23, -v10
	v_dual_mul_f32 v23, v83, v36 :: v_dual_fmac_f32 v52, v80, v22
	s_delay_alu instid0(VALU_DEP_4) | instskip(SKIP_1) | instid1(VALU_DEP_3)
	v_dual_mul_f32 v22, v83, v37 :: v_dual_fmac_f32 v45, v92, v18
	v_fma_f32 v18, v92, v19, -v49
	v_fma_f32 v23, v82, v37, -v23
	v_fmac_f32_e32 v51, v94, v32
	s_delay_alu instid0(VALU_DEP_4) | instskip(SKIP_3) | instid1(VALU_DEP_3)
	v_dual_fmac_f32 v22, v82, v36 :: v_dual_mul_f32 v37, v71, v47
	s_waitcnt lgkmcnt(1)
	v_dual_mul_f32 v19, v95, v32 :: v_dual_mul_f32 v32, v69, v41
	v_dual_mul_f32 v36, v69, v40 :: v_dual_mul_f32 v49, v71, v46
	v_fmac_f32_e32 v37, v70, v46
	s_delay_alu instid0(VALU_DEP_3) | instskip(NEXT) | instid1(VALU_DEP_4)
	v_fma_f32 v19, v94, v33, -v19
	v_fmac_f32_e32 v32, v68, v40
	s_delay_alu instid0(VALU_DEP_4) | instskip(SKIP_4) | instid1(VALU_DEP_2)
	v_fma_f32 v33, v68, v41, -v36
	v_fma_f32 v36, v70, v47, -v49
	v_dual_mul_f32 v40, v77, v29 :: v_dual_mul_f32 v47, v79, v38
	v_dual_mul_f32 v41, v77, v28 :: v_dual_mul_f32 v46, v79, v39
	s_waitcnt lgkmcnt(0)
	v_dual_mul_f32 v49, v61, v25 :: v_dual_fmac_f32 v40, v76, v28
	v_mul_f32_e32 v56, v151, v1
	s_delay_alu instid0(VALU_DEP_3) | instskip(NEXT) | instid1(VALU_DEP_3)
	v_fma_f32 v28, v76, v29, -v41
	v_dual_fmac_f32 v46, v78, v38 :: v_dual_fmac_f32 v49, v60, v24
	v_fma_f32 v29, v78, v39, -v47
	v_dual_mul_f32 v24, v61, v24 :: v_dual_mul_f32 v39, v63, v34
	v_dual_mul_f32 v38, v63, v35 :: v_dual_mul_f32 v47, v85, v42
	v_mul_f32_e32 v41, v85, v43
	s_delay_alu instid0(VALU_DEP_3) | instskip(NEXT) | instid1(VALU_DEP_4)
	v_fma_f32 v24, v60, v25, -v24
	v_fma_f32 v25, v62, v35, -v39
	s_delay_alu instid0(VALU_DEP_4) | instskip(SKIP_4) | instid1(VALU_DEP_3)
	v_fmac_f32_e32 v38, v62, v34
	v_fma_f32 v39, v84, v43, -v47
	v_dual_fmac_f32 v41, v84, v42 :: v_dual_mul_f32 v42, v87, v21
	v_dual_mul_f32 v34, v87, v20 :: v_dual_mul_f32 v43, v73, v31
	v_mul_f32_e32 v47, v75, v17
	v_dual_mul_f32 v35, v73, v30 :: v_dual_fmac_f32 v42, v86, v20
	s_delay_alu instid0(VALU_DEP_3) | instskip(NEXT) | instid1(VALU_DEP_4)
	v_fma_f32 v53, v86, v21, -v34
	v_fmac_f32_e32 v43, v72, v30
	s_delay_alu instid0(VALU_DEP_4) | instskip(SKIP_4) | instid1(VALU_DEP_4)
	v_dual_mul_f32 v20, v149, v26 :: v_dual_fmac_f32 v47, v74, v16
	v_mul_f32_e32 v16, v75, v16
	v_mul_f32_e32 v21, v151, v0
	v_dual_mul_f32 v55, v149, v27 :: v_dual_fmac_f32 v56, v150, v0
	v_add_f32_e32 v0, v48, v51
	v_fma_f32 v57, v74, v17, -v16
	s_delay_alu instid0(VALU_DEP_4)
	v_fma_f32 v59, v150, v1, -v21
	v_add_f32_e32 v1, v11, v19
	v_dual_sub_f32 v16, v48, v51 :: v_dual_add_f32 v17, v50, v45
	v_sub_f32_e32 v11, v11, v19
	v_add_f32_e32 v19, v44, v18
	v_fmac_f32_e32 v55, v148, v26
	v_fma_f32 v58, v148, v27, -v20
	v_sub_f32_e32 v20, v50, v45
	v_sub_f32_e32 v18, v44, v18
	v_dual_add_f32 v21, v52, v22 :: v_dual_sub_f32 v30, v17, v0
	v_add_f32_e32 v26, v10, v23
	v_sub_f32_e32 v22, v22, v52
	v_dual_sub_f32 v10, v23, v10 :: v_dual_add_f32 v23, v17, v0
	v_add_f32_e32 v27, v19, v1
	v_fma_f32 v54, v72, v31, -v35
	s_delay_alu instid0(VALU_DEP_4) | instskip(SKIP_4) | instid1(VALU_DEP_3)
	v_dual_sub_f32 v31, v19, v1 :: v_dual_sub_f32 v44, v22, v20
	v_dual_sub_f32 v34, v0, v21 :: v_dual_sub_f32 v35, v1, v26
	v_dual_sub_f32 v17, v21, v17 :: v_dual_add_f32 v0, v22, v20
	v_sub_f32_e32 v22, v16, v22
	v_dual_add_f32 v1, v10, v18 :: v_dual_sub_f32 v20, v20, v16
	v_dual_sub_f32 v45, v10, v18 :: v_dual_add_f32 v16, v0, v16
	v_add_f32_e32 v21, v21, v23
	v_add_f32_e32 v23, v26, v27
	v_dual_sub_f32 v19, v26, v19 :: v_dual_sub_f32 v10, v11, v10
	v_sub_f32_e32 v18, v18, v11
	v_dual_add_f32 v11, v1, v11 :: v_dual_mul_f32 v26, 0x3d64c772, v17
	s_delay_alu instid0(VALU_DEP_4)
	v_dual_add_f32 v0, v12, v21 :: v_dual_add_f32 v1, v13, v23
	v_mul_f32_e32 v13, 0x3f4a47b2, v35
	v_mul_f32_e32 v35, 0x3f08b237, v45
	;; [unrolled: 1-line block ×4, first 2 shown]
	v_dual_mul_f32 v44, 0xbf5ff5aa, v20 :: v_dual_mul_f32 v45, 0xbf5ff5aa, v18
	s_delay_alu instid0(VALU_DEP_4) | instskip(SKIP_1) | instid1(VALU_DEP_4)
	v_fma_f32 v18, 0xbf5ff5aa, v18, -v35
	v_fma_f32 v26, 0x3f3bfb3b, v30, -v26
	;; [unrolled: 1-line block ×3, first 2 shown]
	s_delay_alu instid0(VALU_DEP_3)
	v_fmac_f32_e32 v18, 0xbee1c552, v11
	v_fmamk_f32 v23, v23, 0xbf955555, v1
	v_fmamk_f32 v17, v17, 0x3d64c772, v12
	v_fma_f32 v12, 0xbf3bfb3b, v30, -v12
	v_fmamk_f32 v30, v22, 0xbeae86e6, v34
	v_fma_f32 v22, 0x3eae86e6, v22, -v44
	v_fma_f32 v34, 0x3eae86e6, v10, -v45
	v_mul_f32_e32 v27, 0x3d64c772, v19
	s_delay_alu instid0(VALU_DEP_4) | instskip(NEXT) | instid1(VALU_DEP_4)
	v_fmac_f32_e32 v30, 0xbee1c552, v16
	v_fmac_f32_e32 v22, 0xbee1c552, v16
	s_delay_alu instid0(VALU_DEP_4) | instskip(SKIP_3) | instid1(VALU_DEP_2)
	v_fmac_f32_e32 v34, 0xbee1c552, v11
	v_fmamk_f32 v19, v19, 0x3d64c772, v13
	v_fmamk_f32 v21, v21, 0xbf955555, v0
	v_fma_f32 v13, 0xbf3bfb3b, v31, -v13
	v_dual_add_f32 v44, v19, v23 :: v_dual_add_f32 v19, v26, v21
	v_fmac_f32_e32 v20, 0xbee1c552, v16
	s_delay_alu instid0(VALU_DEP_2) | instskip(SKIP_3) | instid1(VALU_DEP_3)
	v_sub_f32_e32 v16, v19, v18
	v_fma_f32 v27, 0x3f3bfb3b, v31, -v27
	v_fmamk_f32 v31, v10, 0xbeae86e6, v35
	v_add_f32_e32 v18, v18, v19
	v_dual_add_f32 v26, v27, v23 :: v_dual_add_f32 v35, v17, v21
	v_add_f32_e32 v23, v13, v23
	v_add_f32_e32 v27, v33, v25
	v_sub_f32_e32 v25, v33, v25
	s_delay_alu instid0(VALU_DEP_4)
	v_add_f32_e32 v17, v20, v26
	v_dual_sub_f32 v19, v26, v20 :: v_dual_add_f32 v26, v32, v38
	v_fmac_f32_e32 v31, 0xbee1c552, v11
	v_add_f32_e32 v21, v12, v21
	v_sub_f32_e32 v11, v44, v30
	v_sub_f32_e32 v13, v23, v22
	s_delay_alu instid0(VALU_DEP_4) | instskip(NEXT) | instid1(VALU_DEP_4)
	v_add_f32_e32 v10, v31, v35
	v_add_f32_e32 v12, v34, v21
	v_dual_sub_f32 v20, v21, v34 :: v_dual_add_f32 v21, v22, v23
	v_dual_add_f32 v23, v30, v44 :: v_dual_add_f32 v34, v40, v46
	v_sub_f32_e32 v30, v32, v38
	v_add_f32_e32 v32, v36, v24
	v_dual_sub_f32 v22, v35, v31 :: v_dual_add_f32 v31, v37, v49
	v_sub_f32_e32 v24, v36, v24
	v_dual_add_f32 v35, v28, v29 :: v_dual_sub_f32 v28, v29, v28
	v_sub_f32_e32 v36, v46, v40
	v_dual_sub_f32 v40, v32, v27 :: v_dual_sub_f32 v33, v37, v49
	v_sub_f32_e32 v38, v31, v26
	v_add_f32_e32 v29, v31, v26
	v_dual_add_f32 v37, v32, v27 :: v_dual_sub_f32 v26, v26, v34
	v_dual_sub_f32 v31, v34, v31 :: v_dual_sub_f32 v32, v35, v32
	v_add_f32_e32 v44, v36, v33
	v_add_f32_e32 v45, v28, v24
	v_sub_f32_e32 v48, v28, v24
	v_dual_sub_f32 v28, v25, v28 :: v_dual_add_f32 v29, v34, v29
	v_add_f32_e32 v34, v35, v37
	v_dual_sub_f32 v27, v27, v35 :: v_dual_sub_f32 v46, v36, v33
	v_sub_f32_e32 v24, v24, v25
	s_delay_alu instid0(VALU_DEP_4) | instskip(NEXT) | instid1(VALU_DEP_4)
	v_dual_add_f32 v14, v14, v29 :: v_dual_mul_f32 v35, 0x3d64c772, v31
	v_dual_add_f32 v15, v15, v34 :: v_dual_sub_f32 v36, v30, v36
	v_add_f32_e32 v25, v45, v25
	v_sub_f32_e32 v33, v33, v30
	v_dual_add_f32 v30, v44, v30 :: v_dual_mul_f32 v27, 0x3f4a47b2, v27
	v_dual_mul_f32 v44, 0x3f08b237, v46 :: v_dual_mul_f32 v45, 0x3f08b237, v48
	v_dual_fmamk_f32 v29, v29, 0xbf955555, v14 :: v_dual_fmamk_f32 v34, v34, 0xbf955555, v15
	v_fma_f32 v35, 0x3f3bfb3b, v38, -v35
	v_mul_f32_e32 v26, 0x3f4a47b2, v26
	v_dual_mul_f32 v37, 0x3d64c772, v32 :: v_dual_fmamk_f32 v32, v32, 0x3d64c772, v27
	v_fma_f32 v27, 0xbf3bfb3b, v40, -v27
	s_delay_alu instid0(VALU_DEP_3) | instskip(SKIP_4) | instid1(VALU_DEP_3)
	v_fmamk_f32 v31, v31, 0x3d64c772, v26
	v_fma_f32 v26, 0xbf3bfb3b, v38, -v26
	v_fmamk_f32 v38, v36, 0xbeae86e6, v44
	v_mul_f32_e32 v48, 0xbf5ff5aa, v24
	v_fma_f32 v37, 0x3f3bfb3b, v40, -v37
	v_fmac_f32_e32 v38, 0xbee1c552, v30
	v_mul_f32_e32 v46, 0xbf5ff5aa, v33
	v_fma_f32 v33, 0xbf5ff5aa, v33, -v44
	v_fma_f32 v44, 0xbf5ff5aa, v24, -v45
	s_delay_alu instid0(VALU_DEP_1) | instskip(SKIP_4) | instid1(VALU_DEP_4)
	v_dual_fmac_f32 v33, 0xbee1c552, v30 :: v_dual_fmac_f32 v44, 0xbee1c552, v25
	v_fmamk_f32 v40, v28, 0xbeae86e6, v45
	v_fma_f32 v45, 0x3eae86e6, v28, -v48
	v_add_f32_e32 v48, v32, v34
	v_dual_add_f32 v32, v37, v34 :: v_dual_add_f32 v37, v39, v59
	v_fmac_f32_e32 v40, 0xbee1c552, v25
	s_delay_alu instid0(VALU_DEP_4) | instskip(NEXT) | instid1(VALU_DEP_4)
	v_fmac_f32_e32 v45, 0xbee1c552, v25
	v_sub_f32_e32 v25, v48, v38
	v_fma_f32 v36, 0x3eae86e6, v36, -v46
	v_add_f32_e32 v34, v27, v34
	s_delay_alu instid0(VALU_DEP_2) | instskip(SKIP_4) | instid1(VALU_DEP_3)
	v_dual_sub_f32 v39, v39, v59 :: v_dual_fmac_f32 v36, 0xbee1c552, v30
	v_add_f32_e32 v46, v31, v29
	v_add_f32_e32 v31, v35, v29
	;; [unrolled: 1-line block ×4, first 2 shown]
	v_sub_f32_e32 v28, v31, v44
	s_delay_alu instid0(VALU_DEP_3)
	v_add_f32_e32 v26, v45, v35
	v_add_f32_e32 v30, v44, v31
	v_sub_f32_e32 v31, v32, v33
	v_dual_sub_f32 v27, v34, v36 :: v_dual_sub_f32 v32, v35, v45
	v_add_f32_e32 v33, v36, v34
	v_dual_add_f32 v35, v38, v48 :: v_dual_add_f32 v24, v40, v46
	v_dual_add_f32 v45, v43, v47 :: v_dual_sub_f32 v34, v46, v40
	v_sub_f32_e32 v43, v47, v43
	v_sub_f32_e32 v47, v57, v54
	;; [unrolled: 1-line block ×3, first 2 shown]
	v_add_f32_e32 v36, v41, v56
	v_dual_add_f32 v41, v53, v58 :: v_dual_add_f32 v46, v54, v57
	v_add_f32_e32 v40, v42, v55
	s_delay_alu instid0(VALU_DEP_2) | instskip(SKIP_1) | instid1(VALU_DEP_4)
	v_dual_sub_f32 v42, v42, v55 :: v_dual_sub_f32 v51, v41, v37
	v_add_f32_e32 v49, v41, v37
	v_sub_f32_e32 v37, v37, v46
	s_delay_alu instid0(VALU_DEP_1) | instskip(NEXT) | instid1(VALU_DEP_1)
	v_dual_sub_f32 v44, v53, v58 :: v_dual_mul_f32 v37, 0x3f4a47b2, v37
	v_add_f32_e32 v53, v47, v44
	v_sub_f32_e32 v41, v46, v41
	v_sub_f32_e32 v55, v47, v44
	v_add_f32_e32 v52, v43, v42
	v_sub_f32_e32 v47, v39, v47
	v_sub_f32_e32 v44, v44, v39
	v_dual_sub_f32 v54, v43, v42 :: v_dual_sub_f32 v43, v38, v43
	v_dual_add_f32 v48, v40, v36 :: v_dual_add_f32 v39, v53, v39
	v_sub_f32_e32 v42, v42, v38
	v_add_f32_e32 v46, v46, v49
	v_sub_f32_e32 v50, v40, v36
	v_sub_f32_e32 v36, v36, v45
	v_dual_sub_f32 v40, v45, v40 :: v_dual_mul_f32 v49, 0x3d64c772, v41
	v_add_f32_e32 v45, v45, v48
	v_dual_mul_f32 v53, 0x3f08b237, v55 :: v_dual_add_f32 v38, v52, v38
	v_fmamk_f32 v41, v41, 0x3d64c772, v37
	s_delay_alu instid0(VALU_DEP_4) | instskip(SKIP_1) | instid1(VALU_DEP_4)
	v_fma_f32 v49, 0x3f3bfb3b, v51, -v49
	v_fma_f32 v37, 0xbf3bfb3b, v51, -v37
	v_dual_fmamk_f32 v51, v47, 0xbeae86e6, v53 :: v_dual_add_f32 v8, v8, v45
	v_mul_f32_e32 v55, 0xbf5ff5aa, v44
	s_delay_alu instid0(VALU_DEP_2) | instskip(NEXT) | instid1(VALU_DEP_3)
	v_fmac_f32_e32 v51, 0xbee1c552, v39
	v_fmamk_f32 v45, v45, 0xbf955555, v8
	v_dual_mul_f32 v48, 0x3d64c772, v40 :: v_dual_add_f32 v9, v9, v46
	v_mul_f32_e32 v36, 0x3f4a47b2, v36
	s_delay_alu instid0(VALU_DEP_2) | instskip(SKIP_1) | instid1(VALU_DEP_3)
	v_fma_f32 v48, 0x3f3bfb3b, v50, -v48
	v_mul_f32_e32 v52, 0x3f08b237, v54
	v_fmamk_f32 v40, v40, 0x3d64c772, v36
	v_fma_f32 v36, 0xbf3bfb3b, v50, -v36
	v_mul_f32_e32 v54, 0xbf5ff5aa, v42
	s_delay_alu instid0(VALU_DEP_4) | instskip(SKIP_2) | instid1(VALU_DEP_4)
	v_fmamk_f32 v50, v43, 0xbeae86e6, v52
	v_fma_f32 v52, 0xbf5ff5aa, v42, -v52
	v_fma_f32 v42, 0xbf5ff5aa, v44, -v53
	;; [unrolled: 1-line block ×4, first 2 shown]
	s_delay_alu instid0(VALU_DEP_4) | instskip(SKIP_2) | instid1(VALU_DEP_4)
	v_dual_add_f32 v43, v48, v45 :: v_dual_fmac_f32 v52, 0xbee1c552, v38
	v_fmamk_f32 v46, v46, 0xbf955555, v9
	v_fmac_f32_e32 v50, 0xbee1c552, v38
	v_dual_fmac_f32 v44, 0xbee1c552, v39 :: v_dual_fmac_f32 v53, 0xbee1c552, v38
	s_delay_alu instid0(VALU_DEP_3) | instskip(SKIP_1) | instid1(VALU_DEP_1)
	v_add_f32_e32 v54, v41, v46
	v_add_f32_e32 v48, v49, v46
	v_dual_add_f32 v41, v52, v48 :: v_dual_add_f32 v46, v37, v46
	s_delay_alu instid0(VALU_DEP_3) | instskip(SKIP_2) | instid1(VALU_DEP_2)
	v_dual_fmac_f32 v42, 0xbee1c552, v39 :: v_dual_sub_f32 v37, v54, v50
	v_add_f32_e32 v47, v40, v45
	v_add_f32_e32 v45, v36, v45
	v_dual_sub_f32 v39, v46, v53 :: v_dual_add_f32 v36, v51, v47
	s_delay_alu instid0(VALU_DEP_2)
	v_add_f32_e32 v38, v44, v45
	v_sub_f32_e32 v44, v45, v44
	v_add_f32_e32 v45, v53, v46
	v_sub_f32_e32 v40, v43, v42
	v_dual_add_f32 v42, v42, v43 :: v_dual_sub_f32 v43, v48, v52
	v_dual_sub_f32 v46, v47, v51 :: v_dual_add_f32 v47, v50, v54
	ds_store_b64 v249, v[10:11] offset:1728
	ds_store_b64 v249, v[12:13] offset:3456
	;; [unrolled: 1-line block ×6, first 2 shown]
	ds_store_2addr_b64 v249, v[0:1], v[14:15] offset1:63
	ds_store_b64 v249, v[28:29] offset:5688
	ds_store_b64 v249, v[30:31] offset:7416
	;; [unrolled: 1-line block ×6, first 2 shown]
	ds_store_2addr_b64 v154, v[24:25], v[36:37] offset0:23 offset1:86
	ds_store_b64 v249, v[38:39] offset:4464
	ds_store_b64 v249, v[40:41] offset:6192
	;; [unrolled: 1-line block ×5, first 2 shown]
	s_and_saveexec_b32 s0, vcc_lo
	s_cbranch_execz .LBB0_9
; %bb.8:
	v_dual_mul_f32 v0, v129, v7 :: v_dual_mul_f32 v1, v135, v145
	v_dual_mul_f32 v8, v133, v143 :: v_dual_mul_f32 v11, v139, v153
	v_mul_f32_e32 v9, v131, v3
	s_delay_alu instid0(VALU_DEP_3) | instskip(NEXT) | instid1(VALU_DEP_3)
	v_dual_mul_f32 v10, v137, v147 :: v_dual_fmac_f32 v1, v134, v144
	v_dual_fmac_f32 v8, v132, v142 :: v_dual_fmac_f32 v11, v138, v152
	s_delay_alu instid0(VALU_DEP_3) | instskip(NEXT) | instid1(VALU_DEP_3)
	v_fmac_f32_e32 v9, v130, v2
	v_fmac_f32_e32 v10, v136, v146
	v_mul_f32_e32 v14, v139, v152
	s_delay_alu instid0(VALU_DEP_4) | instskip(SKIP_3) | instid1(VALU_DEP_3)
	v_sub_f32_e32 v12, v1, v8
	v_fmac_f32_e32 v0, v128, v6
	v_dual_mul_f32 v18, v137, v146 :: v_dual_mul_f32 v19, v135, v144
	v_sub_f32_e32 v13, v9, v10
	v_dual_mul_f32 v6, v129, v6 :: v_dual_sub_f32 v15, v0, v11
	v_fma_f32 v14, v138, v153, -v14
	s_delay_alu instid0(VALU_DEP_4) | instskip(NEXT) | instid1(VALU_DEP_4)
	v_fma_f32 v18, v136, v147, -v18
	v_sub_f32_e32 v16, v12, v13
	s_delay_alu instid0(VALU_DEP_4)
	v_fma_f32 v6, v128, v7, -v6
	v_mul_f32_e32 v7, v133, v142
	v_sub_f32_e32 v17, v15, v12
	v_fma_f32 v19, v134, v145, -v19
	v_mul_f32_e32 v16, 0x3f08b237, v16
	v_mul_f32_e32 v2, v131, v2
	v_fma_f32 v7, v132, v143, -v7
	s_delay_alu instid0(VALU_DEP_2) | instskip(SKIP_3) | instid1(VALU_DEP_3)
	v_fma_f32 v2, v130, v3, -v2
	v_add_f32_e32 v3, v12, v13
	v_dual_fmamk_f32 v21, v17, 0xbeae86e6, v16 :: v_dual_add_f32 v12, v14, v6
	v_sub_f32_e32 v13, v13, v15
	v_add_f32_e32 v22, v3, v15
	v_dual_add_f32 v3, v7, v19 :: v_dual_add_f32 v20, v18, v2
	v_dual_sub_f32 v7, v19, v7 :: v_dual_sub_f32 v2, v2, v18
	s_delay_alu instid0(VALU_DEP_2) | instskip(NEXT) | instid1(VALU_DEP_3)
	v_sub_f32_e32 v24, v12, v3
	v_add_f32_e32 v23, v20, v12
	v_fmac_f32_e32 v21, 0xbee1c552, v22
	s_delay_alu instid0(VALU_DEP_2) | instskip(NEXT) | instid1(VALU_DEP_4)
	v_add_f32_e32 v23, v3, v23
	v_dual_add_f32 v9, v10, v9 :: v_dual_mul_f32 v10, 0x3f4a47b2, v24
	v_add_f32_e32 v11, v11, v0
	v_dual_sub_f32 v0, v3, v20 :: v_dual_add_f32 v3, v8, v1
	s_delay_alu instid0(VALU_DEP_4) | instskip(NEXT) | instid1(VALU_DEP_2)
	v_dual_add_f32 v1, v5, v23 :: v_dual_sub_f32 v12, v20, v12
	v_mul_f32_e32 v8, 0x3d64c772, v0
	s_delay_alu instid0(VALU_DEP_4) | instskip(NEXT) | instid1(VALU_DEP_4)
	v_dual_fmamk_f32 v24, v0, 0x3d64c772, v10 :: v_dual_add_f32 v5, v9, v11
	v_sub_f32_e32 v0, v11, v3
	s_delay_alu instid0(VALU_DEP_1) | instskip(NEXT) | instid1(VALU_DEP_1)
	v_dual_add_f32 v5, v3, v5 :: v_dual_mul_f32 v18, 0x3f4a47b2, v0
	v_dual_fmamk_f32 v23, v23, 0xbf955555, v1 :: v_dual_add_f32 v0, v4, v5
	v_dual_sub_f32 v19, v3, v9 :: v_dual_sub_f32 v4, v6, v14
	s_delay_alu instid0(VALU_DEP_2) | instskip(NEXT) | instid1(VALU_DEP_3)
	v_dual_add_f32 v14, v24, v23 :: v_dual_sub_f32 v3, v7, v2
	v_fmamk_f32 v5, v5, 0xbf955555, v0
	s_delay_alu instid0(VALU_DEP_3) | instskip(NEXT) | instid1(VALU_DEP_4)
	v_fmamk_f32 v6, v19, 0x3d64c772, v18
	v_sub_f32_e32 v24, v4, v7
	v_sub_f32_e32 v9, v9, v11
	v_mul_f32_e32 v25, 0x3f08b237, v3
	v_dual_sub_f32 v11, v2, v4 :: v_dual_add_f32 v2, v7, v2
	v_mul_f32_e32 v15, 0x3d64c772, v19
	s_delay_alu instid0(VALU_DEP_3) | instskip(SKIP_1) | instid1(VALU_DEP_4)
	v_dual_add_f32 v19, v6, v5 :: v_dual_fmamk_f32 v26, v24, 0xbeae86e6, v25
	v_fma_f32 v7, 0xbf3bfb3b, v9, -v18
	v_add_f32_e32 v2, v2, v4
	v_fma_f32 v4, 0x3f3bfb3b, v12, -v8
	v_mul_f32_e32 v6, 0xbf5ff5aa, v13
	v_fma_f32 v8, 0xbf5ff5aa, v13, -v16
	v_dual_add_f32 v20, v7, v5 :: v_dual_add_f32 v3, v21, v14
	v_sub_f32_e32 v13, v14, v21
	s_delay_alu instid0(VALU_DEP_4) | instskip(SKIP_3) | instid1(VALU_DEP_3)
	v_fma_f32 v17, 0x3eae86e6, v17, -v6
	v_fma_f32 v6, 0xbf3bfb3b, v12, -v10
	v_add_nc_u32_e32 v14, 0x500, v249
	v_add_nc_u32_e32 v16, 0x2000, v249
	v_dual_fmac_f32 v17, 0xbee1c552, v22 :: v_dual_add_f32 v18, v6, v23
	v_mul_f32_e32 v10, 0xbf5ff5aa, v11
	v_fma_f32 v6, 0x3f3bfb3b, v9, -v15
	v_dual_add_f32 v9, v4, v23 :: v_dual_fmac_f32 v8, 0xbee1c552, v22
	v_fmac_f32_e32 v26, 0xbee1c552, v2
	v_add_nc_u32_e32 v15, 0x1300, v249
	s_delay_alu instid0(VALU_DEP_4) | instskip(NEXT) | instid1(VALU_DEP_4)
	v_dual_add_f32 v12, v6, v5 :: v_dual_add_f32 v5, v17, v18
	v_sub_f32_e32 v7, v9, v8
	v_fma_f32 v10, 0x3eae86e6, v24, -v10
	s_delay_alu instid0(VALU_DEP_1) | instskip(SKIP_1) | instid1(VALU_DEP_2)
	v_dual_add_f32 v9, v8, v9 :: v_dual_fmac_f32 v10, 0xbee1c552, v2
	v_fma_f32 v11, 0xbf5ff5aa, v11, -v25
	v_sub_f32_e32 v4, v20, v10
	s_delay_alu instid0(VALU_DEP_2) | instskip(SKIP_1) | instid1(VALU_DEP_2)
	v_dual_fmac_f32 v11, 0xbee1c552, v2 :: v_dual_add_f32 v10, v10, v20
	v_sub_f32_e32 v2, v19, v26
	v_add_f32_e32 v6, v11, v12
	v_sub_f32_e32 v8, v12, v11
	v_add_f32_e32 v12, v26, v19
	v_sub_f32_e32 v11, v18, v17
	ds_store_2addr_b64 v14, v[0:1], v[12:13] offset0:29 offset1:245
	ds_store_2addr_b64 v15, v[10:11], v[8:9] offset0:13 offset1:229
	;; [unrolled: 1-line block ×3, first 2 shown]
	ds_store_b64 v249, v[2:3] offset:11880
.LBB0_9:
	s_or_b32 exec_lo, exec_lo, s0
	s_waitcnt lgkmcnt(0)
	s_barrier
	buffer_gl0_inv
	s_clause 0x6
	scratch_load_b64 v[8:9], off, off
	scratch_load_b64 v[21:22], off, off offset:20
	scratch_load_b64 v[45:46], off, off offset:36
	;; [unrolled: 1-line block ×6, first 2 shown]
	ds_load_2addr_b64 v[0:3], v249 offset1:63
	v_mad_u64_u32 v[18:19], null, s4, v220, 0
	s_mov_b32 s0, 0x6b015ac0
	s_mov_b32 s1, 0x3f45ac05
	s_mul_i32 s8, s5, 0x17a0
	s_mul_hi_u32 s9, s4, 0x17a0
	s_mul_hi_u32 s10, s4, 0xffffea58
	v_add_nc_u32_e32 v15, 0x400, v249
	s_clause 0x1
	scratch_load_b64 v[54:55], off, off offset:180
	scratch_load_b64 v[52:53], off, off offset:164
	s_waitcnt vmcnt(7) lgkmcnt(0)
	v_dual_mov_b32 v32, v8 :: v_dual_mul_f32 v13, v22, v1
	v_add_nc_u32_e32 v4, 0x1400, v249
	ds_load_2addr_b64 v[8:11], v249 offset0:126 offset1:189
	v_mul_f32_e32 v14, v22, v0
	v_mad_u64_u32 v[16:17], null, s6, v32, 0
	v_fmac_f32_e32 v13, v21, v0
	ds_load_2addr_b64 v[4:7], v4 offset0:116 offset1:179
	v_fma_f32 v0, v21, v1, -v14
	s_mul_i32 s6, s4, 0x17a0
	v_mad_u64_u32 v[30:31], null, s7, v32, v[17:18]
	s_add_i32 s7, s9, s8
	s_waitcnt vmcnt(3) lgkmcnt(1)
	s_delay_alu instid0(VALU_DEP_1)
	v_dual_mov_b32 v17, v30 :: v_dual_mul_f32 v34, v39, v11
	v_mul_f32_e32 v35, v39, v10
	scratch_load_b64 v[39:40], off, off offset:28 ; 8-byte Folded Reload
	v_mul_f32_e32 v22, v26, v3
	v_dual_mul_f32 v20, v26, v2 :: v_dual_mul_f32 v33, v37, v8
	s_waitcnt vmcnt(3) lgkmcnt(0)
	v_mul_f32_e32 v14, v24, v4
	s_delay_alu instid0(VALU_DEP_3) | instskip(NEXT) | instid1(VALU_DEP_3)
	v_dual_mul_f32 v1, v24, v5 :: v_dual_fmac_f32 v22, v25, v2
	v_fma_f32 v2, v25, v3, -v20
	v_cvt_f64_f32_e32 v[20:21], v13
	s_delay_alu instid0(VALU_DEP_3)
	v_dual_fmac_f32 v1, v23, v4 :: v_dual_add_nc_u32 v12, 0x1800, v249
	v_fma_f32 v3, v23, v5, -v14
	v_cvt_f64_f32_e32 v[4:5], v0
	v_cvt_f64_f32_e32 v[24:25], v2
	;; [unrolled: 1-line block ×5, first 2 shown]
	ds_load_2addr_b64 v[0:3], v12 offset0:114 offset1:177
	v_mul_f32_e32 v30, v46, v7
	v_fma_f32 v33, v36, v9, -v33
	ds_load_2addr_b64 v[12:15], v15 offset0:124 offset1:187
	v_mad_u64_u32 v[31:32], null, s5, v220, v[19:20]
	v_add_nc_u32_e32 v44, 0x1c00, v249
	v_mul_f32_e32 v32, v37, v9
	v_mul_f64 v[4:5], v[4:5], s[0:1]
	s_delay_alu instid0(VALU_DEP_4)
	v_mov_b32_e32 v19, v31
	v_mul_f32_e32 v31, v46, v6
	scratch_load_b64 v[46:47], off, off offset:188 ; 8-byte Folded Reload
	v_fmac_f32_e32 v32, v36, v8
	v_mul_f64 v[8:9], v[20:21], s[0:1]
	v_mul_f64 v[20:21], v[24:25], s[0:1]
	v_fma_f32 v31, v45, v7, -v31
	v_mul_f64 v[24:25], v[28:29], s[0:1]
	s_delay_alu instid0(VALU_DEP_2)
	v_cvt_f64_f32_e32 v[28:29], v31
	v_cvt_f32_f64_e32 v8, v[8:9]
	v_cvt_f32_f64_e32 v9, v[4:5]
	s_waitcnt vmcnt(1) lgkmcnt(1)
	v_dual_mul_f32 v37, v40, v0 :: v_dual_add_nc_u32 v4, 0x800, v249
	v_fmac_f32_e32 v34, v38, v10
	v_fma_f32 v38, v38, v11, -v35
	v_mul_f64 v[10:11], v[22:23], s[0:1]
	v_mul_f64 v[22:23], v[26:27], s[0:1]
	s_delay_alu instid0(VALU_DEP_2) | instskip(SKIP_1) | instid1(VALU_DEP_3)
	v_cvt_f32_f64_e32 v10, v[10:11]
	v_cvt_f32_f64_e32 v11, v[20:21]
	;; [unrolled: 1-line block ×4, first 2 shown]
	v_mul_f64 v[24:25], v[28:29], s[0:1]
	s_waitcnt vmcnt(0)
	v_mul_f32_e32 v41, v47, v2
	v_fmac_f32_e32 v30, v45, v6
	v_cvt_f64_f32_e32 v[6:7], v32
	s_delay_alu instid0(VALU_DEP_3) | instskip(NEXT) | instid1(VALU_DEP_3)
	v_fma_f32 v45, v46, v3, -v41
	v_cvt_f64_f32_e32 v[26:27], v30
	v_cvt_f64_f32_e32 v[30:31], v33
	s_delay_alu instid0(VALU_DEP_2)
	v_mul_f64 v[22:23], v[26:27], s[0:1]
	v_mul_f64 v[26:27], v[6:7], s[0:1]
	ds_load_2addr_b64 v[4:7], v4 offset0:122 offset1:185
	v_mul_f32_e32 v36, v40, v1
	v_mul_f32_e32 v40, v47, v3
	scratch_load_b64 v[47:48], off, off offset:196 ; 8-byte Folded Reload
	v_mul_f64 v[28:29], v[30:31], s[0:1]
	v_fmac_f32_e32 v40, v46, v2
	v_lshlrev_b64 v[2:3], 3, v[18:19]
	s_delay_alu instid0(VALU_DEP_2)
	v_cvt_f64_f32_e32 v[40:41], v40
	s_waitcnt lgkmcnt(0)
	v_mul_f32_e32 v51, v53, v4
	v_fmac_f32_e32 v36, v39, v0
	v_fma_f32 v0, v39, v1, -v37
	v_cvt_f64_f32_e32 v[38:39], v38
	v_mul_f32_e32 v50, v53, v5
	v_fma_f32 v51, v52, v5, -v51
	s_delay_alu instid0(VALU_DEP_2)
	v_fmac_f32_e32 v50, v52, v4
	v_cvt_f32_f64_e32 v22, v[22:23]
	v_cvt_f32_f64_e32 v23, v[24:25]
	s_waitcnt vmcnt(0)
	v_mul_f32_e32 v42, v48, v13
	v_mul_f32_e32 v43, v48, v12
	v_cvt_f64_f32_e32 v[32:33], v34
	v_cvt_f64_f32_e32 v[34:35], v36
	;; [unrolled: 1-line block ×3, first 2 shown]
	v_fmac_f32_e32 v42, v47, v12
	v_fma_f32 v18, v47, v13, -v43
	scratch_load_b64 v[47:48], off, off offset:156 ; 8-byte Folded Reload
	v_lshlrev_b64 v[0:1], 3, v[16:17]
	v_cvt_f64_f32_e32 v[12:13], v45
	v_cvt_f64_f32_e32 v[16:17], v42
	;; [unrolled: 1-line block ×3, first 2 shown]
	s_delay_alu instid0(VALU_DEP_4) | instskip(SKIP_3) | instid1(VALU_DEP_2)
	v_add_co_u32 v0, vcc_lo, s2, v0
	s_mul_i32 s2, s5, 0xffffea58
	v_add_co_ci_u32_e32 v1, vcc_lo, s3, v1, vcc_lo
	s_sub_i32 s3, s10, s4
	v_add_co_u32 v42, vcc_lo, v0, v2
	s_add_i32 s2, s3, s2
	s_mul_i32 s3, s4, 0xffffea58
	v_add_co_ci_u32_e32 v43, vcc_lo, v1, v3, vcc_lo
	ds_load_2addr_b64 v[0:3], v44 offset0:112 offset1:175
	v_add_co_u32 v44, vcc_lo, v42, s6
	v_add_co_ci_u32_e32 v45, vcc_lo, s7, v43, vcc_lo
	s_delay_alu instid0(VALU_DEP_2) | instskip(NEXT) | instid1(VALU_DEP_2)
	v_add_co_u32 v24, vcc_lo, v44, s3
	v_add_co_ci_u32_e32 v25, vcc_lo, s2, v45, vcc_lo
	v_mul_f64 v[32:33], v[32:33], s[0:1]
	v_mul_f64 v[30:31], v[34:35], s[0:1]
	;; [unrolled: 1-line block ×7, first 2 shown]
	s_waitcnt vmcnt(0) lgkmcnt(0)
	v_mul_f32_e32 v40, v48, v1
	v_mul_f32_e32 v41, v48, v0
	scratch_load_b64 v[48:49], off, off offset:172 ; 8-byte Folded Reload
	s_clause 0x2
	global_store_b64 v[42:43], v[8:9], off
	global_store_b64 v[44:45], v[20:21], off
	;; [unrolled: 1-line block ×3, first 2 shown]
	v_cvt_f32_f64_e32 v8, v[26:27]
	v_cvt_f32_f64_e32 v9, v[28:29]
	;; [unrolled: 1-line block ×4, first 2 shown]
	v_fmac_f32_e32 v40, v47, v0
	v_fma_f32 v41, v47, v1, -v41
	v_mul_f64 v[0:1], v[18:19], s[0:1]
	v_cvt_f32_f64_e32 v10, v[30:31]
	v_cvt_f32_f64_e32 v11, v[34:35]
	v_cvt_f64_f32_e32 v[18:19], v40
	v_cvt_f64_f32_e32 v[40:41], v41
	v_cvt_f32_f64_e32 v21, v[36:37]
	v_cvt_f32_f64_e32 v26, v[38:39]
	;; [unrolled: 1-line block ×4, first 2 shown]
	v_add_co_u32 v0, vcc_lo, v24, s6
	v_add_co_ci_u32_e32 v1, vcc_lo, s7, v25, vcc_lo
	v_mul_f64 v[16:17], v[18:19], s[0:1]
	s_delay_alu instid0(VALU_DEP_3) | instskip(SKIP_1) | instid1(VALU_DEP_4)
	v_add_co_u32 v28, vcc_lo, v0, s3
	v_mul_f64 v[18:19], v[40:41], s[0:1]
	v_add_co_ci_u32_e32 v29, vcc_lo, s2, v1, vcc_lo
	global_store_b64 v[0:1], v[22:23], off
	v_add_nc_u32_e32 v0, 0x2000, v249
	v_add_co_u32 v36, vcc_lo, v28, s6
	v_add_co_ci_u32_e32 v37, vcc_lo, s7, v29, vcc_lo
	s_delay_alu instid0(VALU_DEP_2) | instskip(NEXT) | instid1(VALU_DEP_2)
	v_add_co_u32 v22, vcc_lo, v36, s3
	v_add_co_ci_u32_e32 v23, vcc_lo, s2, v37, vcc_lo
	s_delay_alu instid0(VALU_DEP_2) | instskip(NEXT) | instid1(VALU_DEP_2)
	;; [unrolled: 3-line block ×3, first 2 shown]
	v_add_co_u32 v40, vcc_lo, v38, s3
	v_add_co_ci_u32_e32 v41, vcc_lo, s2, v39, vcc_lo
	v_cvt_f32_f64_e32 v16, v[16:17]
	v_cvt_f32_f64_e32 v17, v[18:19]
	s_delay_alu instid0(VALU_DEP_4) | instskip(NEXT) | instid1(VALU_DEP_4)
	v_add_co_u32 v18, vcc_lo, v40, s6
	v_add_co_ci_u32_e32 v19, vcc_lo, s7, v41, vcc_lo
	s_waitcnt vmcnt(0)
	v_mul_f32_e32 v46, v49, v15
	s_delay_alu instid0(VALU_DEP_1) | instskip(SKIP_2) | instid1(VALU_DEP_3)
	v_fmac_f32_e32 v46, v48, v14
	v_mul_f32_e32 v14, v49, v14
	v_mul_f32_e32 v49, v55, v2
	v_cvt_f64_f32_e32 v[46:47], v46
	s_delay_alu instid0(VALU_DEP_3) | instskip(SKIP_1) | instid1(VALU_DEP_4)
	v_fma_f32 v14, v48, v15, -v14
	v_mul_f32_e32 v48, v55, v3
	v_fma_f32 v49, v54, v3, -v49
	s_delay_alu instid0(VALU_DEP_3) | instskip(NEXT) | instid1(VALU_DEP_3)
	v_cvt_f64_f32_e32 v[14:15], v14
	v_fmac_f32_e32 v48, v54, v2
	s_delay_alu instid0(VALU_DEP_3) | instskip(NEXT) | instid1(VALU_DEP_2)
	v_cvt_f64_f32_e32 v[4:5], v49
	v_cvt_f64_f32_e32 v[2:3], v48
	;; [unrolled: 1-line block ×4, first 2 shown]
	v_mul_f64 v[24:25], v[46:47], s[0:1]
	v_mul_f64 v[14:15], v[14:15], s[0:1]
	;; [unrolled: 1-line block ×4, first 2 shown]
	ds_load_2addr_b64 v[0:3], v0 offset0:110 offset1:173
	global_store_b64 v[28:29], v[8:9], off
	global_store_b64 v[36:37], v[10:11], off
	global_store_b64 v[22:23], v[20:21], off
	global_store_b64 v[38:39], v[26:27], off
	global_store_b64 v[40:41], v[12:13], off
	v_mul_f64 v[34:35], v[50:51], s[0:1]
	v_add_nc_u32_e32 v8, 0xc00, v249
	v_mul_f64 v[32:33], v[48:49], s[0:1]
	s_clause 0x3
	scratch_load_b64 v[44:45], off, off offset:60
	scratch_load_b64 v[56:57], off, off offset:68
	;; [unrolled: 1-line block ×4, first 2 shown]
	ds_load_2addr_b64 v[8:11], v8 offset0:120 offset1:183
	s_clause 0x1
	scratch_load_b64 v[51:52], off, off offset:108
	scratch_load_b64 v[46:47], off, off offset:92
	v_cvt_f32_f64_e32 v20, v[24:25]
	v_cvt_f32_f64_e32 v21, v[14:15]
	scratch_load_b64 v[13:14], off, off offset:148 ; 8-byte Folded Reload
	v_cvt_f32_f64_e32 v23, v[4:5]
	v_cvt_f32_f64_e32 v22, v[30:31]
	scratch_load_b64 v[30:31], off, off offset:116 ; 8-byte Folded Reload
	v_cvt_f32_f64_e32 v25, v[34:35]
	v_cvt_f32_f64_e32 v24, v[32:33]
	s_waitcnt vmcnt(1) lgkmcnt(1)
	v_mul_f32_e32 v12, v14, v1
	v_mul_f32_e32 v4, v14, v0
	s_delay_alu instid0(VALU_DEP_2) | instskip(SKIP_2) | instid1(VALU_DEP_3)
	v_fmac_f32_e32 v12, v13, v0
	s_waitcnt vmcnt(0)
	v_dual_mul_f32 v5, v31, v7 :: v_dual_add_nc_u32 v0, 0x2400, v249
	v_fma_f32 v1, v13, v1, -v4
	v_mul_f32_e32 v4, v31, v6
	v_cvt_f64_f32_e32 v[26:27], v12
	ds_load_2addr_b64 v[12:15], v0 offset0:108 offset1:171
	v_fmac_f32_e32 v5, v30, v6
	v_cvt_f64_f32_e32 v[28:29], v1
	v_fma_f32 v0, v30, v7, -v4
	scratch_load_b64 v[6:7], off, off offset:124 ; 8-byte Folded Reload
	v_cvt_f64_f32_e32 v[30:31], v5
	s_waitcnt lgkmcnt(1)
	v_mul_f32_e32 v5, v47, v9
	v_cvt_f64_f32_e32 v[32:33], v0
	s_delay_alu instid0(VALU_DEP_2)
	v_fmac_f32_e32 v5, v46, v8
	v_mul_f32_e32 v8, v47, v8
	scratch_load_b64 v[47:48], off, off offset:100 ; 8-byte Folded Reload
	v_cvt_f64_f32_e32 v[38:39], v5
	v_fma_f32 v8, v46, v9, -v8
	s_waitcnt lgkmcnt(0)
	v_mul_f32_e32 v40, v45, v13
	v_mul_f32_e32 v41, v45, v12
	s_delay_alu instid0(VALU_DEP_3) | instskip(NEXT) | instid1(VALU_DEP_3)
	v_cvt_f64_f32_e32 v[8:9], v8
	v_fmac_f32_e32 v40, v44, v12
	s_delay_alu instid0(VALU_DEP_3) | instskip(NEXT) | instid1(VALU_DEP_1)
	v_fma_f32 v12, v44, v13, -v41
	v_cvt_f64_f32_e32 v[12:13], v12
	v_mul_f64 v[26:27], v[26:27], s[0:1]
	v_mul_f64 v[28:29], v[28:29], s[0:1]
	;; [unrolled: 1-line block ×7, first 2 shown]
	v_cvt_f32_f64_e32 v26, v[26:27]
	v_cvt_f32_f64_e32 v27, v[28:29]
	;; [unrolled: 1-line block ×7, first 2 shown]
	s_waitcnt vmcnt(1)
	v_mul_f32_e32 v4, v7, v2
	v_mul_f32_e32 v1, v7, v3
	s_delay_alu instid0(VALU_DEP_2) | instskip(NEXT) | instid1(VALU_DEP_2)
	v_fma_f32 v0, v6, v3, -v4
	v_dual_fmac_f32 v1, v6, v2 :: v_dual_add_nc_u32 v4, 0x2800, v249
	v_add_nc_u32_e32 v2, 0x1000, v249
	s_waitcnt vmcnt(0)
	v_mul_f32_e32 v42, v48, v11
	ds_load_2addr_b64 v[4:7], v4 offset0:106 offset1:169
	v_mul_f32_e32 v43, v48, v10
	v_cvt_f64_f32_e32 v[34:35], v1
	v_cvt_f64_f32_e32 v[36:37], v0
	ds_load_2addr_b64 v[0:3], v2 offset0:118 offset1:181
	v_fmac_f32_e32 v42, v47, v10
	v_fma_f32 v43, v47, v11, -v43
	v_cvt_f64_f32_e32 v[10:11], v40
	s_delay_alu instid0(VALU_DEP_3) | instskip(NEXT) | instid1(VALU_DEP_3)
	v_cvt_f64_f32_e32 v[40:41], v42
	v_cvt_f64_f32_e32 v[42:43], v43
	s_waitcnt lgkmcnt(1)
	v_mul_f32_e32 v48, v57, v5
	s_waitcnt lgkmcnt(0)
	v_mul_f32_e32 v46, v50, v1
	v_dual_mul_f32 v47, v50, v0 :: v_dual_mul_f32 v50, v55, v3
	s_delay_alu instid0(VALU_DEP_3)
	v_fmac_f32_e32 v48, v56, v4
	v_mul_f32_e32 v4, v57, v4
	scratch_load_b64 v[57:58], off, off offset:76 ; 8-byte Folded Reload
	v_mul_f32_e32 v44, v52, v15
	v_dual_mul_f32 v45, v52, v14 :: v_dual_fmac_f32 v46, v49, v0
	v_fma_f32 v47, v49, v1, -v47
	v_fmac_f32_e32 v50, v54, v2
	s_delay_alu instid0(VALU_DEP_4) | instskip(NEXT) | instid1(VALU_DEP_4)
	v_fmac_f32_e32 v44, v51, v14
	v_fma_f32 v14, v51, v15, -v45
	v_mul_f32_e32 v51, v55, v2
	v_fma_f32 v4, v56, v5, -v4
	v_cvt_f64_f32_e32 v[48:49], v48
	v_cvt_f64_f32_e32 v[0:1], v44
	;; [unrolled: 1-line block ×3, first 2 shown]
	v_fma_f32 v51, v54, v3, -v51
	v_cvt_f64_f32_e32 v[44:45], v46
	v_cvt_f64_f32_e32 v[46:47], v47
	;; [unrolled: 1-line block ×4, first 2 shown]
	v_add_co_u32 v54, vcc_lo, v18, s3
	v_add_co_ci_u32_e32 v55, vcc_lo, s2, v19, vcc_lo
	v_mul_f64 v[34:35], v[34:35], s[0:1]
	v_mul_f64 v[36:37], v[36:37], s[0:1]
	s_delay_alu instid0(VALU_DEP_4)
	v_add_co_u32 v56, vcc_lo, v54, s6
	v_mul_f64 v[10:11], v[10:11], s[0:1]
	v_mul_f64 v[0:1], v[0:1], s[0:1]
	v_mul_f64 v[14:15], v[14:15], s[0:1]
	v_mul_f64 v[2:3], v[2:3], s[0:1]
	v_mul_f64 v[4:5], v[4:5], s[0:1]
	v_cvt_f32_f64_e32 v34, v[34:35]
	v_cvt_f32_f64_e32 v35, v[36:37]
	;; [unrolled: 1-line block ×5, first 2 shown]
	s_waitcnt vmcnt(0)
	v_mul_f32_e32 v52, v58, v7
	v_mul_f32_e32 v53, v58, v6
	s_delay_alu instid0(VALU_DEP_2) | instskip(NEXT) | instid1(VALU_DEP_2)
	v_fmac_f32_e32 v52, v57, v6
	v_fma_f32 v53, v57, v7, -v53
	v_cvt_f64_f32_e32 v[6:7], v51
	v_add_co_ci_u32_e32 v57, vcc_lo, s7, v55, vcc_lo
	v_add_co_u32 v58, vcc_lo, v56, s3
	v_cvt_f64_f32_e32 v[50:51], v52
	v_cvt_f64_f32_e32 v[52:53], v53
	s_delay_alu instid0(VALU_DEP_4) | instskip(NEXT) | instid1(VALU_DEP_4)
	v_add_co_ci_u32_e32 v59, vcc_lo, s2, v57, vcc_lo
	v_add_co_u32 v28, vcc_lo, v58, s6
	global_store_b64 v[18:19], v[16:17], off
	global_store_b64 v[54:55], v[20:21], off
	;; [unrolled: 1-line block ×4, first 2 shown]
	v_mul_f64 v[16:17], v[40:41], s[0:1]
	v_mul_f64 v[18:19], v[42:43], s[0:1]
	;; [unrolled: 1-line block ×5, first 2 shown]
	v_add_co_ci_u32_e32 v29, vcc_lo, s7, v59, vcc_lo
	v_add_co_u32 v32, vcc_lo, v28, s3
	s_delay_alu instid0(VALU_DEP_2)
	v_add_co_ci_u32_e32 v33, vcc_lo, s2, v29, vcc_lo
	global_store_b64 v[28:29], v[26:27], off
	v_add_co_u32 v36, vcc_lo, v32, s6
	v_add_co_ci_u32_e32 v37, vcc_lo, s7, v33, vcc_lo
	global_store_b64 v[32:33], v[30:31], off
	v_add_co_u32 v10, vcc_lo, v36, s3
	v_add_co_ci_u32_e32 v11, vcc_lo, s2, v37, vcc_lo
	global_store_b64 v[36:37], v[34:35], off
	global_store_b64 v[10:11], v[38:39], off
	v_mul_f64 v[6:7], v[6:7], s[0:1]
	v_mul_f64 v[40:41], v[50:51], s[0:1]
	;; [unrolled: 1-line block ×3, first 2 shown]
	v_cvt_f32_f64_e32 v12, v[16:17]
	v_cvt_f32_f64_e32 v13, v[18:19]
	;; [unrolled: 1-line block ×8, first 2 shown]
	v_add_co_u32 v6, vcc_lo, v10, s6
	v_add_co_ci_u32_e32 v7, vcc_lo, s7, v11, vcc_lo
	v_cvt_f32_f64_e32 v4, v[40:41]
	v_cvt_f32_f64_e32 v5, v[42:43]
	s_delay_alu instid0(VALU_DEP_4) | instskip(NEXT) | instid1(VALU_DEP_4)
	v_add_co_u32 v18, vcc_lo, v6, s3
	v_add_co_ci_u32_e32 v19, vcc_lo, s2, v7, vcc_lo
	global_store_b64 v[6:7], v[8:9], off
	v_add_co_u32 v20, vcc_lo, v18, s6
	v_add_co_ci_u32_e32 v21, vcc_lo, s7, v19, vcc_lo
	global_store_b64 v[18:19], v[12:13], off
	v_add_co_u32 v22, vcc_lo, v20, s3
	v_add_co_ci_u32_e32 v23, vcc_lo, s2, v21, vcc_lo
	s_delay_alu instid0(VALU_DEP_2) | instskip(NEXT) | instid1(VALU_DEP_2)
	v_add_co_u32 v10, vcc_lo, v22, s6
	v_add_co_ci_u32_e32 v11, vcc_lo, s7, v23, vcc_lo
	s_delay_alu instid0(VALU_DEP_2) | instskip(NEXT) | instid1(VALU_DEP_2)
	;; [unrolled: 3-line block ×3, first 2 shown]
	v_add_co_u32 v8, vcc_lo, v6, s6
	v_add_co_ci_u32_e32 v9, vcc_lo, s7, v7, vcc_lo
	global_store_b64 v[20:21], v[0:1], off
	global_store_b64 v[22:23], v[14:15], off
	;; [unrolled: 1-line block ×5, first 2 shown]
.LBB0_10:
	s_nop 0
	s_sendmsg sendmsg(MSG_DEALLOC_VGPRS)
	s_endpgm
	.section	.rodata,"a",@progbits
	.p2align	6, 0x0
	.amdhsa_kernel bluestein_single_fwd_len1512_dim1_sp_op_CI_CI
		.amdhsa_group_segment_fixed_size 12096
		.amdhsa_private_segment_fixed_size 456
		.amdhsa_kernarg_size 104
		.amdhsa_user_sgpr_count 15
		.amdhsa_user_sgpr_dispatch_ptr 0
		.amdhsa_user_sgpr_queue_ptr 0
		.amdhsa_user_sgpr_kernarg_segment_ptr 1
		.amdhsa_user_sgpr_dispatch_id 0
		.amdhsa_user_sgpr_private_segment_size 0
		.amdhsa_wavefront_size32 1
		.amdhsa_uses_dynamic_stack 0
		.amdhsa_enable_private_segment 1
		.amdhsa_system_sgpr_workgroup_id_x 1
		.amdhsa_system_sgpr_workgroup_id_y 0
		.amdhsa_system_sgpr_workgroup_id_z 0
		.amdhsa_system_sgpr_workgroup_info 0
		.amdhsa_system_vgpr_workitem_id 0
		.amdhsa_next_free_vgpr 256
		.amdhsa_next_free_sgpr 20
		.amdhsa_reserve_vcc 1
		.amdhsa_float_round_mode_32 0
		.amdhsa_float_round_mode_16_64 0
		.amdhsa_float_denorm_mode_32 3
		.amdhsa_float_denorm_mode_16_64 3
		.amdhsa_dx10_clamp 1
		.amdhsa_ieee_mode 1
		.amdhsa_fp16_overflow 0
		.amdhsa_workgroup_processor_mode 1
		.amdhsa_memory_ordered 1
		.amdhsa_forward_progress 0
		.amdhsa_shared_vgpr_count 0
		.amdhsa_exception_fp_ieee_invalid_op 0
		.amdhsa_exception_fp_denorm_src 0
		.amdhsa_exception_fp_ieee_div_zero 0
		.amdhsa_exception_fp_ieee_overflow 0
		.amdhsa_exception_fp_ieee_underflow 0
		.amdhsa_exception_fp_ieee_inexact 0
		.amdhsa_exception_int_div_zero 0
	.end_amdhsa_kernel
	.text
.Lfunc_end0:
	.size	bluestein_single_fwd_len1512_dim1_sp_op_CI_CI, .Lfunc_end0-bluestein_single_fwd_len1512_dim1_sp_op_CI_CI
                                        ; -- End function
	.section	.AMDGPU.csdata,"",@progbits
; Kernel info:
; codeLenInByte = 29168
; NumSgprs: 22
; NumVgprs: 256
; ScratchSize: 456
; MemoryBound: 0
; FloatMode: 240
; IeeeMode: 1
; LDSByteSize: 12096 bytes/workgroup (compile time only)
; SGPRBlocks: 2
; VGPRBlocks: 31
; NumSGPRsForWavesPerEU: 22
; NumVGPRsForWavesPerEU: 256
; Occupancy: 5
; WaveLimiterHint : 1
; COMPUTE_PGM_RSRC2:SCRATCH_EN: 1
; COMPUTE_PGM_RSRC2:USER_SGPR: 15
; COMPUTE_PGM_RSRC2:TRAP_HANDLER: 0
; COMPUTE_PGM_RSRC2:TGID_X_EN: 1
; COMPUTE_PGM_RSRC2:TGID_Y_EN: 0
; COMPUTE_PGM_RSRC2:TGID_Z_EN: 0
; COMPUTE_PGM_RSRC2:TIDIG_COMP_CNT: 0
	.text
	.p2alignl 7, 3214868480
	.fill 96, 4, 3214868480
	.type	__hip_cuid_c905ed70b9a67508,@object ; @__hip_cuid_c905ed70b9a67508
	.section	.bss,"aw",@nobits
	.globl	__hip_cuid_c905ed70b9a67508
__hip_cuid_c905ed70b9a67508:
	.byte	0                               ; 0x0
	.size	__hip_cuid_c905ed70b9a67508, 1

	.ident	"AMD clang version 19.0.0git (https://github.com/RadeonOpenCompute/llvm-project roc-6.4.0 25133 c7fe45cf4b819c5991fe208aaa96edf142730f1d)"
	.section	".note.GNU-stack","",@progbits
	.addrsig
	.addrsig_sym __hip_cuid_c905ed70b9a67508
	.amdgpu_metadata
---
amdhsa.kernels:
  - .args:
      - .actual_access:  read_only
        .address_space:  global
        .offset:         0
        .size:           8
        .value_kind:     global_buffer
      - .actual_access:  read_only
        .address_space:  global
        .offset:         8
        .size:           8
        .value_kind:     global_buffer
      - .actual_access:  read_only
        .address_space:  global
        .offset:         16
        .size:           8
        .value_kind:     global_buffer
      - .actual_access:  read_only
        .address_space:  global
        .offset:         24
        .size:           8
        .value_kind:     global_buffer
      - .actual_access:  read_only
        .address_space:  global
        .offset:         32
        .size:           8
        .value_kind:     global_buffer
      - .offset:         40
        .size:           8
        .value_kind:     by_value
      - .address_space:  global
        .offset:         48
        .size:           8
        .value_kind:     global_buffer
      - .address_space:  global
        .offset:         56
        .size:           8
        .value_kind:     global_buffer
      - .address_space:  global
        .offset:         64
        .size:           8
        .value_kind:     global_buffer
      - .address_space:  global
        .offset:         72
        .size:           8
        .value_kind:     global_buffer
      - .offset:         80
        .size:           4
        .value_kind:     by_value
      - .address_space:  global
        .offset:         88
        .size:           8
        .value_kind:     global_buffer
      - .address_space:  global
        .offset:         96
        .size:           8
        .value_kind:     global_buffer
    .group_segment_fixed_size: 12096
    .kernarg_segment_align: 8
    .kernarg_segment_size: 104
    .language:       OpenCL C
    .language_version:
      - 2
      - 0
    .max_flat_workgroup_size: 63
    .name:           bluestein_single_fwd_len1512_dim1_sp_op_CI_CI
    .private_segment_fixed_size: 456
    .sgpr_count:     22
    .sgpr_spill_count: 0
    .symbol:         bluestein_single_fwd_len1512_dim1_sp_op_CI_CI.kd
    .uniform_work_group_size: 1
    .uses_dynamic_stack: false
    .vgpr_count:     256
    .vgpr_spill_count: 113
    .wavefront_size: 32
    .workgroup_processor_mode: 1
amdhsa.target:   amdgcn-amd-amdhsa--gfx1100
amdhsa.version:
  - 1
  - 2
...

	.end_amdgpu_metadata
